;; amdgpu-corpus repo=ROCm/rocFFT kind=compiled arch=gfx1201 opt=O3
	.text
	.amdgcn_target "amdgcn-amd-amdhsa--gfx1201"
	.amdhsa_code_object_version 6
	.protected	bluestein_single_back_len1536_dim1_sp_op_CI_CI ; -- Begin function bluestein_single_back_len1536_dim1_sp_op_CI_CI
	.globl	bluestein_single_back_len1536_dim1_sp_op_CI_CI
	.p2align	8
	.type	bluestein_single_back_len1536_dim1_sp_op_CI_CI,@function
bluestein_single_back_len1536_dim1_sp_op_CI_CI: ; @bluestein_single_back_len1536_dim1_sp_op_CI_CI
; %bb.0:
	s_load_b128 s[8:11], s[0:1], 0x28
	s_mov_b32 s2, ttmp9
	s_mov_b32 s3, 0
	s_mov_b32 s5, exec_lo
	s_wait_kmcnt 0x0
	v_cmpx_lt_u64_e64 s[2:3], s[8:9]
	s_cbranch_execz .LBB0_23
; %bb.1:
	s_clause 0x1
	s_load_b64 s[8:9], s[0:1], 0x0
	s_load_b64 s[12:13], s[0:1], 0x38
	v_dual_mov_b32 v70, s3 :: v_dual_mov_b32 v69, s2
	v_cmp_gt_u32_e32 vcc_lo, 0x60, v0
	v_lshlrev_b32_e32 v74, 3, v0
	v_or_b32_e32 v76, 0x180, v0
	v_or_b32_e32 v75, 0x480, v0
	s_and_saveexec_b32 s3, vcc_lo
	s_cbranch_execz .LBB0_3
; %bb.2:
	s_load_b64 s[4:5], s[0:1], 0x18
	v_add_nc_u32_e32 v71, 0x800, v74
	v_add_nc_u32_e32 v73, 0x1800, v74
	;; [unrolled: 1-line block ×3, first 2 shown]
	s_wait_kmcnt 0x0
	s_load_b128 s[4:7], s[4:5], 0x0
	s_clause 0x3
	global_load_b64 v[5:6], v74, s[8:9]
	global_load_b64 v[7:8], v74, s[8:9] offset:768
	global_load_b64 v[9:10], v74, s[8:9] offset:1536
	;; [unrolled: 1-line block ×3, first 2 shown]
	s_wait_kmcnt 0x0
	v_mad_co_u64_u32 v[1:2], null, s6, v69, 0
	v_mad_co_u64_u32 v[3:4], null, s4, v0, 0
	v_mad_co_u64_u32 v[13:14], null, s4, v76, 0
	v_mad_co_u64_u32 v[15:16], null, s4, v75, 0
	s_delay_alu instid0(VALU_DEP_3) | instskip(SKIP_1) | instid1(VALU_DEP_1)
	v_mad_co_u64_u32 v[17:18], null, s7, v69, v[2:3]
	s_mul_u64 s[6:7], s[4:5], 0x300
	v_mov_b32_e32 v2, v17
	s_delay_alu instid0(VALU_DEP_1) | instskip(NEXT) | instid1(VALU_DEP_1)
	v_lshlrev_b64_e32 v[1:2], 3, v[1:2]
	v_add_co_u32 v33, s2, s10, v1
	s_wait_alu 0xf1ff
	s_delay_alu instid0(VALU_DEP_2)
	v_add_co_ci_u32_e64 v34, s2, s11, v2, s2
	s_wait_loadcnt 0x3
	v_mad_co_u64_u32 v[18:19], null, s5, v0, v[4:5]
	s_clause 0x4
	global_load_b64 v[19:20], v74, s[8:9] offset:3072
	global_load_b64 v[21:22], v74, s[8:9] offset:3840
	;; [unrolled: 1-line block ×5, first 2 shown]
	v_mov_b32_e32 v4, v18
	v_mad_co_u64_u32 v[17:18], null, s5, v76, v[14:15]
	s_delay_alu instid0(VALU_DEP_2) | instskip(NEXT) | instid1(VALU_DEP_2)
	v_lshlrev_b64_e32 v[3:4], 3, v[3:4]
	v_mad_co_u64_u32 v[29:30], null, s5, v75, v[16:17]
	s_delay_alu instid0(VALU_DEP_2) | instskip(SKIP_1) | instid1(VALU_DEP_3)
	v_add_co_u32 v1, s2, v33, v3
	s_wait_alu 0xf1ff
	v_add_co_ci_u32_e64 v2, s2, v34, v4, s2
	v_mov_b32_e32 v14, v17
	s_wait_alu 0xfffe
	v_add_co_u32 v3, s2, v1, s6
	s_wait_alu 0xf1ff
	v_add_co_ci_u32_e64 v4, s2, s7, v2, s2
	v_lshlrev_b64_e32 v[13:14], 3, v[13:14]
	s_delay_alu instid0(VALU_DEP_3) | instskip(SKIP_1) | instid1(VALU_DEP_3)
	v_add_co_u32 v17, s2, v3, s6
	s_wait_alu 0xf1ff
	v_add_co_ci_u32_e64 v18, s2, s7, v4, s2
	v_mov_b32_e32 v16, v29
	s_delay_alu instid0(VALU_DEP_3) | instskip(SKIP_1) | instid1(VALU_DEP_3)
	v_add_co_u32 v29, s2, v17, s6
	s_wait_alu 0xf1ff
	v_add_co_ci_u32_e64 v30, s2, s7, v18, s2
	v_add_co_u32 v13, s2, v33, v13
	s_wait_alu 0xf1ff
	v_add_co_ci_u32_e64 v14, s2, v34, v14, s2
	s_clause 0x1
	global_load_b64 v[1:2], v[1:2], off
	global_load_b64 v[13:14], v[13:14], off
	v_mad_co_u64_u32 v[31:32], null, 0x600, s4, v[29:30]
	s_mulk_i32 s5, 0x600
	global_load_b64 v[3:4], v[3:4], off
	v_add_nc_u32_e32 v70, 0x400, v74
	s_wait_loadcnt 0x2
	v_mul_f32_e32 v65, v2, v6
	v_lshlrev_b64_e32 v[15:16], 3, v[15:16]
	s_wait_alu 0xfffe
	v_add_nc_u32_e32 v32, s5, v32
	s_wait_loadcnt 0x1
	v_dual_mul_f32 v67, v14, v20 :: v_dual_add_nc_u32 v72, 0x1000, v74
	v_fmac_f32_e32 v65, v1, v5
	v_add_co_u32 v15, s2, v33, v15
	s_delay_alu instid0(VALU_DEP_3)
	v_fmac_f32_e32 v67, v13, v19
	s_wait_alu 0xf1ff
	v_add_co_ci_u32_e64 v16, s2, v34, v16, s2
	v_add_co_u32 v33, s2, v31, s6
	s_wait_alu 0xf1ff
	v_add_co_ci_u32_e64 v34, s2, s7, v32, s2
	global_load_b64 v[15:16], v[15:16], off
	v_add_co_u32 v35, s2, v33, s6
	s_wait_alu 0xf1ff
	v_add_co_ci_u32_e64 v36, s2, s7, v34, s2
	s_clause 0x1
	global_load_b64 v[17:18], v[17:18], off
	global_load_b64 v[29:30], v[29:30], off
	v_add_co_u32 v37, s2, v35, s6
	s_wait_alu 0xf1ff
	v_add_co_ci_u32_e64 v38, s2, s7, v36, s2
	global_load_b64 v[31:32], v[31:32], off
	v_add_co_u32 v39, s2, v37, s6
	s_wait_alu 0xf1ff
	v_add_co_ci_u32_e64 v40, s2, s7, v38, s2
	global_load_b64 v[33:34], v[33:34], off
	v_add_co_u32 v41, s2, v39, s6
	s_wait_alu 0xf1ff
	v_add_co_ci_u32_e64 v42, s2, s7, v40, s2
	global_load_b64 v[37:38], v[37:38], off
	v_add_co_u32 v43, s2, v41, s6
	s_wait_alu 0xf1ff
	v_add_co_ci_u32_e64 v44, s2, s7, v42, s2
	global_load_b64 v[35:36], v[35:36], off
	global_load_b64 v[47:48], v74, s[8:9] offset:6144
	global_load_b64 v[39:40], v[39:40], off
	s_clause 0x3
	global_load_b64 v[49:50], v74, s[8:9] offset:6912
	global_load_b64 v[51:52], v74, s[8:9] offset:7680
	;; [unrolled: 1-line block ×4, first 2 shown]
	global_load_b64 v[41:42], v[41:42], off
	v_mul_f32_e32 v66, v1, v6
	v_mad_co_u64_u32 v[45:46], null, 0x600, s4, v[43:44]
	global_load_b64 v[43:44], v[43:44], off
	v_mul_f32_e32 v20, v13, v20
	v_fma_f32 v66, v2, v5, -v66
	s_wait_loadcnt 0xf
	v_mul_f32_e32 v1, v4, v8
	v_mul_f32_e32 v8, v3, v8
	v_add_nc_u32_e32 v78, 0x2000, v74
	v_add_nc_u32_e32 v46, s5, v46
	v_add_co_u32 v57, s2, v45, s6
	v_fmac_f32_e32 v1, v3, v7
	v_fma_f32 v2, v4, v7, -v8
	s_wait_alu 0xf1ff
	v_add_co_ci_u32_e64 v58, s2, s7, v46, s2
	v_add_co_u32 v59, s2, v57, s6
	global_load_b64 v[45:46], v[45:46], off
	s_wait_alu 0xf1ff
	v_add_co_ci_u32_e64 v60, s2, s7, v58, s2
	global_load_b64 v[57:58], v[57:58], off
	s_clause 0x1
	global_load_b64 v[61:62], v74, s[8:9] offset:10752
	global_load_b64 v[63:64], v74, s[8:9] offset:11520
	global_load_b64 v[59:60], v[59:60], off
	ds_store_2addr_b64 v74, v[65:66], v[1:2] offset1:96
	s_wait_loadcnt 0x12
	v_dual_mul_f32 v3, v18, v10 :: v_dual_mul_f32 v6, v16, v28
	s_wait_loadcnt 0x11
	v_dual_mul_f32 v4, v17, v10 :: v_dual_mul_f32 v1, v30, v12
	v_mul_f32_e32 v2, v29, v12
	v_mul_f32_e32 v28, v15, v28
	s_wait_loadcnt 0x10
	v_mul_f32_e32 v5, v31, v22
	v_fmac_f32_e32 v3, v17, v9
	v_fmac_f32_e32 v1, v29, v11
	;; [unrolled: 1-line block ×3, first 2 shown]
	v_mul_f32_e32 v8, v32, v22
	v_fma_f32 v4, v18, v9, -v4
	v_fma_f32 v2, v30, v11, -v2
	;; [unrolled: 1-line block ×3, first 2 shown]
	s_wait_loadcnt 0xf
	v_mul_f32_e32 v5, v33, v24
	v_fma_f32 v68, v14, v19, -v20
	v_mul_f32_e32 v10, v34, v24
	ds_store_2addr_b64 v70, v[3:4], v[1:2] offset0:64 offset1:160
	s_wait_loadcnt 0xc
	v_dual_mul_f32 v3, v38, v48 :: v_dual_fmac_f32 v8, v31, v21
	v_fma_f32 v11, v34, v23, -v5
	s_wait_loadcnt 0xa
	v_mul_f32_e32 v5, v39, v50
	s_delay_alu instid0(VALU_DEP_3)
	v_dual_mul_f32 v2, v35, v26 :: v_dual_fmac_f32 v3, v37, v47
	ds_store_2addr_b64 v71, v[67:68], v[8:9] offset0:128 offset1:224
	v_mul_f32_e32 v8, v40, v50
	v_fma_f32 v9, v40, v49, -v5
	s_wait_loadcnt 0x6
	v_mul_f32_e32 v5, v41, v52
	v_dual_mul_f32 v1, v36, v26 :: v_dual_mul_f32 v4, v37, v48
	s_wait_loadcnt 0x5
	v_dual_fmac_f32 v10, v33, v23 :: v_dual_mul_f32 v15, v43, v54
	s_delay_alu instid0(VALU_DEP_3)
	v_fma_f32 v13, v42, v51, -v5
	v_mul_f32_e32 v12, v42, v52
	v_mul_f32_e32 v14, v44, v54
	v_fma_f32 v7, v16, v27, -v28
	v_fmac_f32_e32 v1, v35, v25
	v_fma_f32 v2, v36, v25, -v2
	v_fmac_f32_e32 v12, v41, v51
	v_fma_f32 v15, v44, v53, -v15
	s_wait_loadcnt 0x4
	v_mul_f32_e32 v5, v45, v56
	v_mul_f32_e32 v16, v46, v56
	s_wait_loadcnt 0x2
	v_dual_fmac_f32 v8, v39, v49 :: v_dual_mul_f32 v19, v57, v62
	v_mul_f32_e32 v18, v58, v62
	s_wait_loadcnt 0x0
	v_mul_f32_e32 v20, v60, v64
	v_mul_f32_e32 v21, v59, v64
	v_fma_f32 v17, v46, v55, -v5
	v_add_nc_u32_e32 v5, 0x2800, v74
	v_fma_f32 v4, v38, v47, -v4
	v_fmac_f32_e32 v14, v43, v53
	v_fmac_f32_e32 v16, v45, v55
	;; [unrolled: 1-line block ×3, first 2 shown]
	v_fma_f32 v19, v58, v61, -v19
	v_fmac_f32_e32 v20, v59, v63
	v_fma_f32 v21, v60, v63, -v21
	ds_store_2addr_b64 v72, v[10:11], v[1:2] offset0:64 offset1:160
	ds_store_2addr_b64 v73, v[3:4], v[8:9] offset1:96
	ds_store_2addr_b64 v77, v[12:13], v[14:15] offset0:64 offset1:160
	ds_store_2addr_b64 v78, v[6:7], v[16:17] offset0:128 offset1:224
	;; [unrolled: 1-line block ×3, first 2 shown]
.LBB0_3:
	s_wait_alu 0xfffe
	s_or_b32 exec_lo, exec_lo, s3
	global_wb scope:SCOPE_SE
	s_wait_dscnt 0x0
	s_wait_kmcnt 0x0
	s_barrier_signal -1
	s_barrier_wait -1
	global_inv scope:SCOPE_SE
                                        ; implicit-def: $vgpr29
                                        ; implicit-def: $vgpr19
                                        ; implicit-def: $vgpr15
                                        ; implicit-def: $vgpr27
                                        ; implicit-def: $vgpr31
                                        ; implicit-def: $vgpr11
                                        ; implicit-def: $vgpr23
                                        ; implicit-def: $vgpr7
                                        ; implicit-def: $vgpr3
	s_and_saveexec_b32 s2, vcc_lo
	s_cbranch_execz .LBB0_5
; %bb.4:
	v_add_nc_u32_e32 v5, 0x400, v74
	v_add_nc_u32_e32 v9, 0x800, v74
	v_add_nc_u32_e32 v10, 0x1000, v74
	v_add_nc_u32_e32 v13, 0x1800, v74
	v_add_nc_u32_e32 v14, 0x2000, v74
	v_add_nc_u32_e32 v17, 0x2400, v74
	ds_load_2addr_b64 v[1:4], v74 offset1:96
	ds_load_2addr_b64 v[5:8], v5 offset0:64 offset1:160
	ds_load_2addr_b64 v[21:24], v9 offset0:128 offset1:224
	;; [unrolled: 1-line block ×6, first 2 shown]
	ds_load_b64 v[31:32], v74 offset:6144
	ds_load_b64 v[29:30], v74 offset:11520
.LBB0_5:
	s_wait_alu 0xfffe
	s_or_b32 exec_lo, exec_lo, s2
	s_wait_dscnt 0x1
	v_dual_sub_f32 v31, v1, v31 :: v_dual_sub_f32 v32, v2, v32
	v_dual_sub_f32 v15, v21, v15 :: v_dual_sub_f32 v16, v22, v16
	;; [unrolled: 1-line block ×4, first 2 shown]
	s_delay_alu instid0(VALU_DEP_3) | instskip(NEXT) | instid1(VALU_DEP_3)
	v_fma_f32 v22, v22, 2.0, -v16
	v_fma_f32 v5, v5, 2.0, -v27
	v_dual_sub_f32 v25, v3, v25 :: v_dual_sub_f32 v26, v4, v26
	s_delay_alu instid0(VALU_DEP_4)
	v_fma_f32 v9, v9, 2.0, -v19
	v_fma_f32 v10, v10, 2.0, -v20
	v_dual_sub_f32 v17, v23, v17 :: v_dual_sub_f32 v18, v24, v18
	v_dual_sub_f32 v13, v7, v13 :: v_dual_sub_f32 v14, v8, v14
	s_wait_dscnt 0x0
	v_dual_sub_f32 v29, v11, v29 :: v_dual_sub_f32 v30, v12, v30
	v_dual_sub_f32 v16, v31, v16 :: v_dual_sub_f32 v9, v5, v9
	v_sub_f32_e32 v20, v27, v20
	v_fma_f32 v1, v1, 2.0, -v31
	v_fma_f32 v21, v21, 2.0, -v15
	v_fma_f32 v6, v6, 2.0, -v28
	v_fma_f32 v3, v3, 2.0, -v25
	v_fma_f32 v23, v23, 2.0, -v17
	v_add_f32_e32 v17, v17, v26
	v_fma_f32 v7, v7, 2.0, -v13
	v_fma_f32 v11, v11, 2.0, -v29
	v_dual_add_f32 v15, v15, v32 :: v_dual_sub_f32 v10, v6, v10
	v_fma_f32 v31, v31, 2.0, -v16
	v_add_f32_e32 v19, v19, v28
	v_fma_f32 v27, v27, 2.0, -v20
	v_fma_f32 v2, v2, 2.0, -v32
	;; [unrolled: 1-line block ×4, first 2 shown]
	v_sub_f32_e32 v18, v25, v18
	v_fma_f32 v8, v8, 2.0, -v14
	v_dual_sub_f32 v21, v1, v21 :: v_dual_sub_f32 v22, v2, v22
	v_fma_f32 v12, v12, 2.0, -v30
	v_fma_f32 v32, v32, 2.0, -v15
	v_dual_sub_f32 v23, v3, v23 :: v_dual_sub_f32 v24, v4, v24
	v_fma_f32 v28, v28, 2.0, -v19
	s_delay_alu instid0(VALU_DEP_4)
	v_dual_sub_f32 v11, v7, v11 :: v_dual_sub_f32 v12, v8, v12
	v_dual_sub_f32 v30, v13, v30 :: v_dual_fmamk_f32 v55, v27, 0xbf3504f3, v31
	v_fma_f32 v1, v1, 2.0, -v21
	v_fma_f32 v5, v5, 2.0, -v9
	;; [unrolled: 1-line block ×5, first 2 shown]
	v_dual_add_f32 v29, v29, v14 :: v_dual_fmamk_f32 v56, v28, 0xbf3504f3, v32
	v_fma_f32 v13, v13, 2.0, -v30
	v_fmac_f32_e32 v55, 0xbf3504f3, v28
	v_fmamk_f32 v60, v19, 0x3f3504f3, v15
	v_fma_f32 v2, v2, 2.0, -v22
	v_fma_f32 v6, v6, 2.0, -v10
	;; [unrolled: 1-line block ×4, first 2 shown]
	v_sub_f32_e32 v5, v1, v5
	v_fma_f32 v14, v14, 2.0, -v29
	v_sub_f32_e32 v6, v2, v6
	v_dual_fmac_f32 v56, 0x3f3504f3, v27 :: v_dual_add_f32 v9, v9, v22
	v_dual_fmamk_f32 v28, v20, 0x3f3504f3, v16 :: v_dual_sub_f32 v7, v3, v7
	v_sub_f32_e32 v10, v21, v10
	v_fma_f32 v27, v31, 2.0, -v55
	v_fmac_f32_e32 v60, 0x3f3504f3, v20
	v_fmamk_f32 v20, v13, 0xbf3504f3, v25
	v_sub_f32_e32 v12, v23, v12
	v_fma_f32 v1, v1, 2.0, -v5
	v_dual_fmac_f32 v28, 0xbf3504f3, v19 :: v_dual_add_f32 v11, v11, v24
	v_fma_f32 v19, v21, 2.0, -v10
	v_fma_f32 v21, v22, 2.0, -v9
	;; [unrolled: 1-line block ×3, first 2 shown]
	v_fmamk_f32 v22, v14, 0xbf3504f3, v26
	v_fma_f32 v23, v23, 2.0, -v12
	v_fmac_f32_e32 v20, 0xbf3504f3, v14
	v_fma_f32 v4, v4, 2.0, -v24
	s_delay_alu instid0(VALU_DEP_4) | instskip(NEXT) | instid1(VALU_DEP_4)
	v_dual_sub_f32 v33, v1, v3 :: v_dual_fmac_f32 v22, 0x3f3504f3, v13
	v_fmamk_f32 v37, v23, 0xbf3504f3, v19
	s_delay_alu instid0(VALU_DEP_4)
	v_fma_f32 v13, v25, 2.0, -v20
	v_fmamk_f32 v25, v29, 0x3f3504f3, v17
	v_fma_f32 v14, v15, 2.0, -v60
	v_dual_fmamk_f32 v15, v30, 0x3f3504f3, v18 :: v_dual_sub_f32 v8, v4, v8
	v_fma_f32 v2, v2, 2.0, -v6
	v_fma_f32 v32, v32, 2.0, -v56
	;; [unrolled: 1-line block ×3, first 2 shown]
	s_delay_alu instid0(VALU_DEP_4)
	v_fmac_f32_e32 v15, 0xbf3504f3, v29
	v_fma_f32 v4, v4, 2.0, -v8
	v_fmac_f32_e32 v25, 0x3f3504f3, v30
	v_fma_f32 v26, v26, 2.0, -v22
	v_fma_f32 v24, v24, 2.0, -v11
	v_fma_f32 v3, v18, 2.0, -v15
	v_dual_fmamk_f32 v35, v13, 0xbf6c835e, v27 :: v_dual_sub_f32 v34, v2, v4
	v_fma_f32 v4, v17, 2.0, -v25
	s_delay_alu instid0(VALU_DEP_3) | instskip(SKIP_3) | instid1(VALU_DEP_4)
	v_dual_fmamk_f32 v39, v3, 0xbec3ef15, v16 :: v_dual_lshlrev_b32 v78, 7, v0
	v_fmamk_f32 v36, v26, 0xbf6c835e, v32
	v_dual_fmamk_f32 v38, v24, 0xbf3504f3, v21 :: v_dual_sub_f32 v45, v5, v8
	v_fmamk_f32 v47, v20, 0x3ec3ef15, v55
	v_fmac_f32_e32 v39, 0xbf6c835e, v4
	s_delay_alu instid0(VALU_DEP_4)
	v_fmac_f32_e32 v36, 0x3ec3ef15, v13
	v_fmamk_f32 v48, v22, 0x3ec3ef15, v56
	v_dual_fmamk_f32 v41, v12, 0x3f3504f3, v10 :: v_dual_fmamk_f32 v42, v11, 0x3f3504f3, v9
	v_fmamk_f32 v43, v15, 0x3f6c835e, v28
	v_fmamk_f32 v40, v4, 0xbec3ef15, v14
	;; [unrolled: 1-line block ×3, first 2 shown]
	v_fmac_f32_e32 v35, 0xbec3ef15, v26
	v_dual_fmac_f32 v37, 0xbf3504f3, v24 :: v_dual_add_f32 v46, v7, v6
	v_fmac_f32_e32 v38, 0x3f3504f3, v23
	v_fmac_f32_e32 v47, 0xbf6c835e, v22
	;; [unrolled: 1-line block ×8, first 2 shown]
	v_fma_f32 v29, v1, 2.0, -v33
	v_fma_f32 v30, v2, 2.0, -v34
	;; [unrolled: 1-line block ×16, first 2 shown]
	global_wb scope:SCOPE_SE
	s_barrier_signal -1
	s_barrier_wait -1
	global_inv scope:SCOPE_SE
	s_and_saveexec_b32 s2, vcc_lo
	s_cbranch_execz .LBB0_7
; %bb.6:
	ds_store_b128 v78, v[29:32]
	ds_store_b128 v78, v[49:52] offset:16
	ds_store_b128 v78, v[53:56] offset:32
	;; [unrolled: 1-line block ×7, first 2 shown]
.LBB0_7:
	s_wait_alu 0xfffe
	s_or_b32 exec_lo, exec_lo, s2
	s_clause 0x1
	s_load_b64 s[2:3], s[0:1], 0x20
	s_load_b64 s[0:1], s[0:1], 0x8
	global_wb scope:SCOPE_SE
	s_wait_dscnt 0x0
	s_wait_kmcnt 0x0
	s_barrier_signal -1
	s_barrier_wait -1
	global_inv scope:SCOPE_SE
	s_and_saveexec_b32 s4, vcc_lo
	s_cbranch_execz .LBB0_9
; %bb.8:
	v_add_nc_u32_e32 v1, 0x2400, v74
	v_add_nc_u32_e32 v9, 0x1800, v74
	ds_load_2addr_b64 v[1:4], v1 offset0:96 offset1:192
	v_add_nc_u32_e32 v5, 0x2000, v74
	s_wait_dscnt 0x0
	v_dual_mov_b32 v41, v3 :: v_dual_add_nc_u32 v14, 0x800, v74
	v_mov_b32_e32 v48, v2
	ds_load_2addr_b64 v[5:8], v5 offset0:32 offset1:128
	ds_load_2addr_b64 v[29:32], v74 offset1:96
	ds_load_2addr_b64 v[9:12], v9 offset0:96 offset1:192
	v_add_nc_u32_e32 v13, 0x400, v74
	v_dual_mov_b32 v42, v4 :: v_dual_add_nc_u32 v15, 0x1000, v74
	s_wait_dscnt 0x2
	v_dual_mov_b32 v47, v1 :: v_dual_mov_b32 v40, v6
	s_wait_dscnt 0x0
	v_dual_mov_b32 v45, v7 :: v_dual_mov_b32 v36, v10
	v_mov_b32_e32 v38, v12
	ds_load_b64 v[33:34], v74 offset:6144
	ds_load_b64 v[43:44], v74 offset:11520
	ds_load_2addr_b64 v[49:52], v13 offset0:64 offset1:160
	ds_load_2addr_b64 v[53:56], v14 offset0:128 offset1:224
	;; [unrolled: 1-line block ×3, first 2 shown]
	v_dual_mov_b32 v46, v8 :: v_dual_mov_b32 v39, v5
	v_mov_b32_e32 v37, v11
	v_mov_b32_e32 v35, v9
.LBB0_9:
	s_wait_alu 0xfffe
	s_or_b32 exec_lo, exec_lo, s4
	v_and_b32_e32 v77, 15, v0
	s_delay_alu instid0(VALU_DEP_1)
	v_mad_co_u64_u32 v[61:62], null, 0x78, v77, s[0:1]
	s_clause 0x7
	global_load_b128 v[9:12], v[61:62], off
	global_load_b128 v[5:8], v[61:62], off offset:16
	global_load_b128 v[13:16], v[61:62], off offset:32
	;; [unrolled: 1-line block ×6, first 2 shown]
	global_load_b64 v[70:71], v[61:62], off offset:112
	global_wb scope:SCOPE_SE
	s_wait_loadcnt_dscnt 0x0
	s_barrier_signal -1
	s_barrier_wait -1
	global_inv scope:SCOPE_SE
	v_mul_f32_e32 v62, v31, v10
	v_dual_mul_f32 v61, v32, v10 :: v_dual_mul_f32 v64, v49, v12
	v_dual_mul_f32 v73, v55, v14 :: v_dual_mul_f32 v80, v57, v16
	;; [unrolled: 1-line block ×13, first 2 shown]
	v_dual_fmac_f32 v64, v50, v11 :: v_dual_fmac_f32 v73, v56, v13
	v_fma_f32 v31, v31, v9, -v61
	v_fmac_f32_e32 v88, v38, v23
	v_fmac_f32_e32 v84, v34, v3
	v_fma_f32 v34, v35, v21, -v85
	v_mul_f32_e32 v97, v44, v71
	v_dual_mul_f32 v91, v46, v20 :: v_dual_mul_f32 v94, v47, v26
	v_fma_f32 v50, v51, v5, -v65
	v_fma_f32 v51, v55, v13, -v72
	v_fmac_f32_e32 v90, v40, v17
	v_fma_f32 v38, v47, v25, -v93
	v_sub_f32_e32 v34, v31, v34
	v_fma_f32 v40, v43, v70, -v97
	v_sub_f32_e32 v43, v64, v88
	v_fmac_f32_e32 v66, v52, v5
	v_fma_f32 v52, v57, v15, -v79
	v_fmac_f32_e32 v86, v36, v21
	v_fma_f32 v36, v39, v17, -v89
	v_fma_f32 v39, v41, v27, -v95
	;; [unrolled: 1-line block ×5, first 2 shown]
	v_fmac_f32_e32 v62, v32, v9
	v_fma_f32 v32, v53, v7, -v67
	v_fma_f32 v37, v45, v19, -v91
	v_dual_sub_f32 v39, v52, v39 :: v_dual_sub_f32 v38, v51, v38
	v_dual_fmac_f32 v68, v54, v7 :: v_dual_sub_f32 v33, v29, v33
	s_delay_alu instid0(VALU_DEP_3)
	v_dual_fmac_f32 v80, v58, v15 :: v_dual_sub_f32 v37, v32, v37
	v_sub_f32_e32 v41, v30, v84
	v_sub_f32_e32 v35, v49, v35
	v_fma_f32 v52, v52, 2.0, -v39
	v_fma_f32 v31, v31, 2.0, -v34
	;; [unrolled: 1-line block ×3, first 2 shown]
	v_dual_fmac_f32 v98, v44, v70 :: v_dual_add_f32 v39, v43, v39
	v_dual_sub_f32 v47, v66, v90 :: v_dual_fmac_f32 v82, v60, v1
	v_sub_f32_e32 v45, v62, v86
	v_fma_f32 v29, v29, 2.0, -v33
	v_fma_f32 v32, v32, 2.0, -v37
	v_fmac_f32_e32 v92, v46, v19
	v_fma_f32 v49, v49, 2.0, -v35
	v_dual_fmac_f32 v94, v48, v25 :: v_dual_sub_f32 v51, v31, v51
	v_sub_f32_e32 v48, v82, v98
	v_fma_f32 v53, v59, v1, -v81
	v_fma_f32 v59, v66, 2.0, -v47
	v_add_f32_e32 v37, v41, v37
	v_sub_f32_e32 v61, v29, v32
	v_fma_f32 v60, v82, 2.0, -v48
	v_fmac_f32_e32 v96, v42, v27
	s_delay_alu instid0(VALU_DEP_4) | instskip(SKIP_3) | instid1(VALU_DEP_4)
	v_dual_sub_f32 v42, v68, v92 :: v_dual_fmamk_f32 v65, v39, 0x3f3504f3, v37
	v_fma_f32 v30, v30, 2.0, -v41
	v_sub_f32_e32 v40, v53, v40
	v_sub_f32_e32 v36, v50, v36
	v_fma_f32 v54, v68, 2.0, -v42
	v_sub_f32_e32 v42, v33, v42
	v_fma_f32 v57, v62, 2.0, -v45
	v_fma_f32 v53, v53, 2.0, -v40
	v_add_f32_e32 v40, v47, v40
	v_sub_f32_e32 v54, v30, v54
	v_fma_f32 v62, v33, 2.0, -v42
	v_sub_f32_e32 v33, v49, v52
	v_fma_f32 v50, v50, 2.0, -v36
	v_fma_f32 v55, v64, 2.0, -v43
	;; [unrolled: 1-line block ×3, first 2 shown]
	v_add_f32_e32 v38, v45, v38
	v_sub_f32_e32 v46, v73, v94
	v_fma_f32 v47, v47, 2.0, -v40
	v_fma_f32 v41, v41, 2.0, -v37
	;; [unrolled: 1-line block ×3, first 2 shown]
	v_fmamk_f32 v67, v40, 0x3f3504f3, v38
	v_fma_f32 v58, v73, 2.0, -v46
	v_sub_f32_e32 v46, v34, v46
	s_delay_alu instid0(VALU_DEP_4) | instskip(NEXT) | instid1(VALU_DEP_2)
	v_dual_add_f32 v73, v54, v33 :: v_dual_fmamk_f32 v32, v43, 0xbf3504f3, v41
	v_fma_f32 v63, v34, 2.0, -v46
	v_dual_sub_f32 v34, v50, v53 :: v_dual_sub_f32 v53, v59, v60
	v_sub_f32_e32 v44, v80, v96
	v_fma_f32 v60, v29, 2.0, -v61
	v_fma_f32 v29, v49, 2.0, -v33
	;; [unrolled: 1-line block ×5, first 2 shown]
	s_delay_alu instid0(VALU_DEP_1) | instskip(SKIP_1) | instid1(VALU_DEP_1)
	v_dual_sub_f32 v29, v60, v29 :: v_dual_sub_f32 v52, v55, v56
	v_sub_f32_e32 v56, v57, v58
	v_dual_sub_f32 v44, v35, v44 :: v_dual_add_f32 v81, v56, v34
	s_delay_alu instid0(VALU_DEP_1) | instskip(SKIP_2) | instid1(VALU_DEP_2)
	v_fmac_f32_e32 v65, 0x3f3504f3, v44
	v_sub_f32_e32 v48, v36, v48
	v_fma_f32 v35, v35, 2.0, -v44
	v_fma_f32 v58, v36, 2.0, -v48
	;; [unrolled: 1-line block ×5, first 2 shown]
	v_sub_f32_e32 v53, v51, v53
	v_fmamk_f32 v79, v58, 0xbf3504f3, v63
	v_sub_f32_e32 v33, v68, v36
	v_fma_f32 v45, v45, 2.0, -v38
	v_fma_f32 v36, v37, 2.0, -v65
	v_fmac_f32_e32 v32, 0x3f3504f3, v35
	v_dual_fmac_f32 v79, 0xbf3504f3, v47 :: v_dual_sub_f32 v72, v61, v52
	s_delay_alu instid0(VALU_DEP_4) | instskip(SKIP_2) | instid1(VALU_DEP_4)
	v_fmamk_f32 v80, v47, 0xbf3504f3, v45
	v_dual_fmamk_f32 v66, v48, 0x3f3504f3, v46 :: v_dual_fmac_f32 v67, 0x3f3504f3, v48
	v_sub_f32_e32 v48, v49, v50
	v_fmamk_f32 v37, v53, 0x3f3504f3, v72
	v_fmamk_f32 v30, v35, 0xbf3504f3, v62
	v_fmac_f32_e32 v80, 0x3f3504f3, v58
	v_fma_f32 v47, v51, 2.0, -v53
	v_fma_f32 v82, v38, 2.0, -v67
	s_delay_alu instid0(VALU_DEP_4) | instskip(SKIP_3) | instid1(VALU_DEP_4)
	v_dual_fmac_f32 v37, 0xbf3504f3, v81 :: v_dual_fmac_f32 v30, 0xbf3504f3, v43
	v_fmamk_f32 v38, v81, 0x3f3504f3, v73
	v_fmamk_f32 v52, v80, 0x3ec3ef15, v32
	v_fma_f32 v58, v68, 2.0, -v33
	v_fmamk_f32 v51, v79, 0x3ec3ef15, v30
	v_fma_f32 v31, v61, 2.0, -v72
	v_fma_f32 v59, v62, 2.0, -v30
	;; [unrolled: 1-line block ×3, first 2 shown]
	v_sub_f32_e32 v50, v55, v57
	v_fma_f32 v57, v60, 2.0, -v29
	v_fma_f32 v60, v41, 2.0, -v32
	v_fmamk_f32 v41, v47, 0xbf3504f3, v31
	v_fma_f32 v34, v54, 2.0, -v73
	v_fma_f32 v54, v49, 2.0, -v48
	v_fmamk_f32 v64, v44, 0x3f3504f3, v42
	v_fmac_f32_e32 v38, 0x3f3504f3, v53
	v_dual_fmac_f32 v52, 0x3f6c835e, v79 :: v_dual_lshlrev_b32 v79, 4, v0
	s_delay_alu instid0(VALU_DEP_3)
	v_dual_sub_f32 v53, v57, v54 :: v_dual_fmac_f32 v64, 0xbf3504f3, v39
	v_fmac_f32_e32 v66, 0xbf3504f3, v40
	v_fmamk_f32 v40, v67, 0x3f6c835e, v65
	v_fma_f32 v55, v55, 2.0, -v50
	v_fma_f32 v63, v45, 2.0, -v80
	;; [unrolled: 1-line block ×4, first 2 shown]
	v_fmac_f32_e32 v40, 0x3ec3ef15, v66
	v_dual_sub_f32 v54, v58, v55 :: v_dual_fmac_f32 v51, 0xbf6c835e, v80
	v_fmamk_f32 v55, v62, 0xbf6c835e, v59
	s_delay_alu instid0(VALU_DEP_4)
	v_fmamk_f32 v43, v46, 0xbec3ef15, v35
	v_fma_f32 v61, v56, 2.0, -v81
	v_fmamk_f32 v44, v82, 0xbec3ef15, v36
	v_fmamk_f32 v56, v63, 0xbf6c835e, v60
	v_fmac_f32_e32 v55, 0xbec3ef15, v63
	v_sub_f32_e32 v49, v29, v50
	v_fmac_f32_e32 v41, 0xbf3504f3, v61
	v_fmamk_f32 v39, v66, 0x3f6c835e, v64
	v_fmamk_f32 v42, v61, 0xbf3504f3, v34
	v_fmac_f32_e32 v43, 0xbf6c835e, v82
	v_fmac_f32_e32 v44, 0x3f6c835e, v46
	v_fma_f32 v45, v72, 2.0, -v37
	v_dual_fmac_f32 v39, 0xbec3ef15, v67 :: v_dual_add_f32 v50, v33, v48
	v_fmac_f32_e32 v42, 0x3f3504f3, v47
	v_fma_f32 v46, v73, 2.0, -v38
	v_fma_f32 v48, v65, 2.0, -v40
	s_delay_alu instid0(VALU_DEP_4)
	v_fma_f32 v47, v64, 2.0, -v39
	v_fmac_f32_e32 v56, 0x3ec3ef15, v62
	s_and_saveexec_b32 s4, vcc_lo
	s_cbranch_execz .LBB0_11
; %bb.10:
	v_fma_f32 v62, v32, 2.0, -v52
	v_fma_f32 v32, v35, 2.0, -v43
	;; [unrolled: 1-line block ×3, first 2 shown]
	v_and_or_b32 v34, 0x700, v79, v77
	v_fma_f32 v61, v30, 2.0, -v51
	v_fma_f32 v30, v33, 2.0, -v50
	;; [unrolled: 1-line block ×7, first 2 shown]
	v_lshlrev_b32_e32 v36, 3, v34
	v_fma_f32 v34, v31, 2.0, -v41
	v_fma_f32 v29, v29, 2.0, -v49
	ds_store_2addr_b64 v36, v[57:58], v[59:60] offset1:16
	ds_store_2addr_b64 v36, v[34:35], v[32:33] offset0:32 offset1:48
	ds_store_2addr_b64 v36, v[29:30], v[61:62] offset0:64 offset1:80
	;; [unrolled: 1-line block ×7, first 2 shown]
.LBB0_11:
	s_wait_alu 0xfffe
	s_or_b32 exec_lo, exec_lo, s4
	v_mad_co_u64_u32 v[57:58], null, v0, 40, s[0:1]
	s_load_b128 s[0:3], s[2:3], 0x0
	global_wb scope:SCOPE_SE
	s_wait_dscnt 0x0
	s_wait_kmcnt 0x0
	s_barrier_signal -1
	s_barrier_wait -1
	global_inv scope:SCOPE_SE
	s_clause 0x2
	global_load_b128 v[33:36], v[57:58], off offset:1920
	global_load_b128 v[29:32], v[57:58], off offset:1936
	global_load_b64 v[72:73], v[57:58], off offset:1952
	ds_load_2addr_stride64_b64 v[57:60], v74 offset1:4
	ds_load_2addr_stride64_b64 v[61:64], v74 offset0:8 offset1:12
	ds_load_2addr_stride64_b64 v[65:68], v74 offset0:16 offset1:20
	s_wait_loadcnt_dscnt 0x201
	v_dual_mul_f32 v80, v60, v34 :: v_dual_mul_f32 v83, v61, v36
	v_dual_mul_f32 v81, v59, v34 :: v_dual_mul_f32 v82, v62, v36
	s_wait_loadcnt_dscnt 0x100
	v_dual_mul_f32 v84, v64, v30 :: v_dual_mul_f32 v87, v65, v32
	v_dual_mul_f32 v85, v63, v30 :: v_dual_mul_f32 v86, v66, v32
	s_wait_loadcnt 0x0
	v_dual_mul_f32 v88, v68, v73 :: v_dual_fmac_f32 v83, v62, v35
	v_fma_f32 v59, v59, v33, -v80
	s_delay_alu instid0(VALU_DEP_3)
	v_fma_f32 v62, v65, v31, -v86
	v_fmac_f32_e32 v87, v66, v31
	v_fmac_f32_e32 v81, v60, v33
	v_fma_f32 v60, v61, v35, -v82
	v_mul_f32_e32 v89, v67, v73
	v_fma_f32 v61, v63, v29, -v84
	v_fmac_f32_e32 v85, v64, v29
	v_fma_f32 v63, v67, v72, -v88
	v_add_f32_e32 v64, v57, v60
	s_delay_alu instid0(VALU_DEP_4) | instskip(NEXT) | instid1(VALU_DEP_3)
	v_dual_fmac_f32 v89, v68, v72 :: v_dual_add_f32 v80, v59, v61
	v_dual_add_f32 v65, v60, v62 :: v_dual_add_f32 v82, v61, v63
	v_sub_f32_e32 v60, v60, v62
	v_sub_f32_e32 v66, v83, v87
	v_add_f32_e32 v68, v83, v87
	v_dual_add_f32 v67, v58, v83 :: v_dual_add_f32 v84, v81, v85
	v_dual_sub_f32 v83, v85, v89 :: v_dual_add_f32 v62, v64, v62
	s_delay_alu instid0(VALU_DEP_2)
	v_dual_add_f32 v85, v85, v89 :: v_dual_add_f32 v64, v67, v87
	v_fma_f32 v86, -0.5, v65, v57
	v_sub_f32_e32 v61, v61, v63
	v_fma_f32 v68, -0.5, v68, v58
	v_fmac_f32_e32 v59, -0.5, v82
	v_fmac_f32_e32 v81, -0.5, v85
	v_add_f32_e32 v63, v80, v63
	v_add_f32_e32 v65, v84, v89
	v_fmamk_f32 v67, v66, 0x3f5db3d7, v86
	v_fmac_f32_e32 v86, 0xbf5db3d7, v66
	v_fmamk_f32 v66, v60, 0xbf5db3d7, v68
	v_fmac_f32_e32 v68, 0x3f5db3d7, v60
	v_fmamk_f32 v60, v83, 0x3f5db3d7, v59
	v_add_f32_e32 v58, v64, v65
	v_dual_fmamk_f32 v80, v61, 0xbf5db3d7, v81 :: v_dual_add_f32 v57, v62, v63
	s_delay_alu instid0(VALU_DEP_3) | instskip(SKIP_1) | instid1(VALU_DEP_3)
	v_dual_fmac_f32 v59, 0xbf5db3d7, v83 :: v_dual_mul_f32 v84, 0xbf5db3d7, v60
	v_dual_sub_f32 v63, v62, v63 :: v_dual_sub_f32 v64, v64, v65
	v_dual_mul_f32 v82, 0x3f5db3d7, v80 :: v_dual_fmac_f32 v81, 0x3f5db3d7, v61
	s_delay_alu instid0(VALU_DEP_3) | instskip(NEXT) | instid1(VALU_DEP_2)
	v_dual_mul_f32 v83, -0.5, v59 :: v_dual_fmac_f32 v84, 0.5, v80
	v_dual_fmac_f32 v82, 0.5, v60 :: v_dual_mul_f32 v85, -0.5, v81
	s_delay_alu instid0(VALU_DEP_2) | instskip(NEXT) | instid1(VALU_DEP_2)
	v_dual_fmac_f32 v83, 0x3f5db3d7, v81 :: v_dual_add_f32 v60, v66, v84
	v_dual_sub_f32 v66, v66, v84 :: v_dual_sub_f32 v65, v67, v82
	s_delay_alu instid0(VALU_DEP_3) | instskip(SKIP_1) | instid1(VALU_DEP_4)
	v_fmac_f32_e32 v85, 0xbf5db3d7, v59
	v_add_f32_e32 v59, v67, v82
	v_add_f32_e32 v61, v86, v83
	s_delay_alu instid0(VALU_DEP_3)
	v_dual_sub_f32 v67, v86, v83 :: v_dual_add_f32 v62, v68, v85
	v_sub_f32_e32 v68, v68, v85
	ds_store_2addr_stride64_b64 v74, v[57:58], v[59:60] offset1:4
	ds_store_2addr_stride64_b64 v74, v[61:62], v[63:64] offset0:8 offset1:12
	ds_store_2addr_stride64_b64 v74, v[65:66], v[67:68] offset0:16 offset1:20
	global_wb scope:SCOPE_SE
	s_wait_dscnt 0x0
	s_barrier_signal -1
	s_barrier_wait -1
	global_inv scope:SCOPE_SE
	s_and_saveexec_b32 s6, vcc_lo
	s_cbranch_execz .LBB0_13
; %bb.12:
	s_add_nc_u64 s[4:5], s[8:9], 0x3000
	s_clause 0xf
	global_load_b64 v[112:113], v74, s[8:9] offset:12288
	global_load_b64 v[114:115], v74, s[4:5] offset:768
	;; [unrolled: 1-line block ×16, first 2 shown]
	ds_load_2addr_b64 v[80:83], v74 offset1:96
	v_add_nc_u32_e32 v145, 0x400, v74
	v_add_nc_u32_e32 v146, 0x800, v74
	;; [unrolled: 1-line block ×4, first 2 shown]
	s_wait_loadcnt_dscnt 0xf00
	v_mul_f32_e32 v152, v81, v113
	ds_load_2addr_b64 v[84:87], v145 offset0:64 offset1:160
	s_wait_loadcnt 0xe
	v_mul_f32_e32 v153, v83, v115
	ds_load_2addr_b64 v[88:91], v146 offset0:128 offset1:224
	v_add_nc_u32_e32 v149, 0x1c00, v74
	v_add_nc_u32_e32 v150, 0x2000, v74
	v_dual_mul_f32 v144, v80, v113 :: v_dual_add_nc_u32 v151, 0x2800, v74
	ds_load_2addr_b64 v[92:95], v147 offset0:64 offset1:160
	v_dual_mul_f32 v113, v82, v115 :: v_dual_fmac_f32 v144, v81, v112
	s_wait_loadcnt_dscnt 0xd02
	s_delay_alu instid0(VALU_DEP_1)
	v_dual_fmac_f32 v113, v83, v114 :: v_dual_mul_f32 v154, v85, v117
	v_mul_f32_e32 v115, v84, v117
	s_wait_loadcnt_dscnt 0xb01
	v_mul_f32_e32 v156, v89, v121
	ds_load_2addr_b64 v[96:99], v148 offset1:96
	ds_load_2addr_b64 v[100:103], v149 offset0:64 offset1:160
	ds_load_2addr_b64 v[104:107], v150 offset0:128 offset1:224
	;; [unrolled: 1-line block ×3, first 2 shown]
	v_mul_f32_e32 v155, v87, v119
	v_mul_f32_e32 v117, v86, v119
	;; [unrolled: 1-line block ×3, first 2 shown]
	s_wait_loadcnt 0xa
	v_mul_f32_e32 v157, v91, v123
	s_wait_loadcnt_dscnt 0x904
	v_dual_mul_f32 v121, v90, v123 :: v_dual_mul_f32 v158, v93, v125
	v_mul_f32_e32 v123, v92, v125
	s_wait_loadcnt 0x8
	v_mul_f32_e32 v159, v95, v127
	v_mul_f32_e32 v125, v94, v127
	v_fmac_f32_e32 v115, v85, v116
	v_fmac_f32_e32 v119, v89, v120
	;; [unrolled: 1-line block ×3, first 2 shown]
	s_wait_loadcnt_dscnt 0x703
	v_dual_fmac_f32 v125, v95, v126 :: v_dual_mul_f32 v160, v97, v129
	v_mul_f32_e32 v127, v96, v129
	s_wait_loadcnt_dscnt 0x100
	v_dual_mul_f32 v161, v99, v131 :: v_dual_mul_f32 v166, v109, v141
	v_dual_mul_f32 v129, v98, v131 :: v_dual_mul_f32 v162, v101, v133
	v_mul_f32_e32 v131, v100, v133
	v_mul_f32_e32 v163, v103, v135
	v_dual_mul_f32 v133, v102, v135 :: v_dual_mul_f32 v164, v105, v137
	v_mul_f32_e32 v135, v104, v137
	v_mul_f32_e32 v165, v107, v139
	;; [unrolled: 1-line block ×4, first 2 shown]
	s_wait_loadcnt 0x0
	v_mul_f32_e32 v167, v111, v143
	v_mul_f32_e32 v141, v110, v143
	v_fma_f32 v143, v80, v112, -v152
	v_fma_f32 v112, v82, v114, -v153
	;; [unrolled: 1-line block ×4, first 2 shown]
	v_fmac_f32_e32 v117, v87, v118
	v_fma_f32 v118, v88, v120, -v156
	v_fma_f32 v120, v90, v122, -v157
	v_fmac_f32_e32 v121, v91, v122
	v_fma_f32 v122, v92, v124, -v158
	v_fma_f32 v124, v94, v126, -v159
	;; [unrolled: 1-line block ×3, first 2 shown]
	v_fmac_f32_e32 v127, v97, v128
	v_fma_f32 v128, v98, v130, -v161
	v_fmac_f32_e32 v129, v99, v130
	v_fma_f32 v130, v100, v132, -v162
	;; [unrolled: 2-line block ×7, first 2 shown]
	v_fmac_f32_e32 v141, v111, v142
	ds_store_2addr_b64 v74, v[143:144], v[112:113] offset1:96
	ds_store_2addr_b64 v145, v[114:115], v[116:117] offset0:64 offset1:160
	ds_store_2addr_b64 v146, v[118:119], v[120:121] offset0:128 offset1:224
	;; [unrolled: 1-line block ×3, first 2 shown]
	ds_store_2addr_b64 v148, v[126:127], v[128:129] offset1:96
	ds_store_2addr_b64 v149, v[130:131], v[132:133] offset0:64 offset1:160
	ds_store_2addr_b64 v150, v[134:135], v[136:137] offset0:128 offset1:224
	;; [unrolled: 1-line block ×3, first 2 shown]
.LBB0_13:
	s_wait_alu 0xfffe
	s_or_b32 exec_lo, exec_lo, s6
	global_wb scope:SCOPE_SE
	s_wait_dscnt 0x0
	s_barrier_signal -1
	s_barrier_wait -1
	global_inv scope:SCOPE_SE
	s_and_saveexec_b32 s4, vcc_lo
	s_cbranch_execz .LBB0_15
; %bb.14:
	v_add_nc_u32_e32 v37, 0x400, v74
	v_add_nc_u32_e32 v38, 0x800, v74
	;; [unrolled: 1-line block ×3, first 2 shown]
	ds_load_2addr_b64 v[57:60], v74 offset1:96
	v_add_nc_u32_e32 v40, 0x2000, v74
	ds_load_2addr_b64 v[61:64], v37 offset0:64 offset1:160
	ds_load_2addr_b64 v[65:68], v38 offset0:128 offset1:224
	v_add_nc_u32_e32 v37, 0x1800, v74
	v_add_nc_u32_e32 v38, 0x1c00, v74
	;; [unrolled: 1-line block ×3, first 2 shown]
	ds_load_2addr_b64 v[45:48], v39 offset0:64 offset1:160
	ds_load_2addr_b64 v[53:56], v37 offset1:96
	ds_load_2addr_b64 v[41:44], v38 offset0:64 offset1:160
	ds_load_2addr_b64 v[49:52], v40 offset0:128 offset1:224
	;; [unrolled: 1-line block ×3, first 2 shown]
.LBB0_15:
	s_wait_alu 0xfffe
	s_or_b32 exec_lo, exec_lo, s4
	s_wait_dscnt 0x3
	v_dual_sub_f32 v53, v57, v53 :: v_dual_sub_f32 v54, v58, v54
	s_wait_dscnt 0x1
	v_dual_sub_f32 v49, v65, v49 :: v_dual_sub_f32 v50, v66, v50
	v_dual_sub_f32 v41, v61, v41 :: v_dual_sub_f32 v42, v62, v42
	s_wait_dscnt 0x0
	v_dual_sub_f32 v37, v45, v37 :: v_dual_sub_f32 v38, v46, v38
	v_dual_sub_f32 v55, v59, v55 :: v_dual_sub_f32 v56, v60, v56
	;; [unrolled: 1-line block ×5, first 2 shown]
	v_fma_f32 v57, v57, 2.0, -v53
	v_fma_f32 v58, v58, 2.0, -v54
	;; [unrolled: 1-line block ×16, first 2 shown]
	v_dual_add_f32 v50, v50, v53 :: v_dual_sub_f32 v67, v59, v67
	v_dual_add_f32 v38, v38, v41 :: v_dual_sub_f32 v51, v56, v51
	v_dual_sub_f32 v65, v57, v65 :: v_dual_sub_f32 v66, v58, v66
	v_dual_sub_f32 v49, v54, v49 :: v_dual_sub_f32 v68, v60, v68
	;; [unrolled: 1-line block ×3, first 2 shown]
	v_fma_f32 v53, v53, 2.0, -v50
	v_dual_sub_f32 v37, v42, v37 :: v_dual_add_f32 v52, v52, v55
	v_fma_f32 v41, v41, 2.0, -v38
	v_dual_sub_f32 v47, v63, v47 :: v_dual_sub_f32 v48, v64, v48
	v_fma_f32 v57, v57, 2.0, -v65
	v_fma_f32 v58, v58, 2.0, -v66
	v_fma_f32 v54, v54, 2.0, -v49
	v_fma_f32 v61, v61, 2.0, -v45
	v_fma_f32 v62, v62, 2.0, -v46
	v_fma_f32 v42, v42, 2.0, -v37
	v_fma_f32 v60, v60, 2.0, -v68
	s_delay_alu instid0(VALU_DEP_4) | instskip(SKIP_3) | instid1(VALU_DEP_4)
	v_dual_add_f32 v40, v40, v43 :: v_dual_sub_f32 v61, v57, v61
	v_fma_f32 v64, v64, 2.0, -v48
	v_dual_sub_f32 v39, v44, v39 :: v_dual_fmamk_f32 v80, v41, 0xbf3504f3, v53
	v_fma_f32 v55, v55, 2.0, -v52
	v_fma_f32 v43, v43, 2.0, -v40
	s_delay_alu instid0(VALU_DEP_4)
	v_dual_fmamk_f32 v81, v42, 0xbf3504f3, v54 :: v_dual_sub_f32 v64, v60, v64
	v_sub_f32_e32 v62, v58, v62
	v_dual_fmac_f32 v80, 0x3f3504f3, v42 :: v_dual_add_f32 v83, v46, v65
	v_dual_fmamk_f32 v82, v38, 0x3f3504f3, v50 :: v_dual_fmamk_f32 v85, v37, 0x3f3504f3, v49
	v_fma_f32 v59, v59, 2.0, -v67
	v_fma_f32 v56, v56, 2.0, -v51
	v_fma_f32 v63, v63, 2.0, -v47
	v_fma_f32 v42, v44, 2.0, -v39
	v_fma_f32 v44, v57, 2.0, -v61
	v_fmac_f32_e32 v81, 0xbf3504f3, v41
	v_fma_f32 v57, v58, 2.0, -v62
	v_dual_sub_f32 v84, v66, v45 :: v_dual_fmac_f32 v85, 0xbf3504f3, v38
	v_fma_f32 v46, v65, 2.0, -v83
	v_fmamk_f32 v65, v43, 0xbf3504f3, v55
	v_fma_f32 v38, v60, 2.0, -v64
	v_fmamk_f32 v87, v40, 0x3f3504f3, v52
	v_fma_f32 v45, v54, 2.0, -v81
	v_dual_fmac_f32 v82, 0x3f3504f3, v37 :: v_dual_sub_f32 v63, v59, v63
	v_fma_f32 v54, v66, 2.0, -v84
	v_fmamk_f32 v66, v42, 0xbf3504f3, v56
	v_dual_fmac_f32 v65, 0x3f3504f3, v42 :: v_dual_add_f32 v48, v48, v67
	v_dual_sub_f32 v88, v68, v47 :: v_dual_fmamk_f32 v89, v39, 0x3f3504f3, v51
	v_dual_sub_f32 v42, v57, v38 :: v_dual_fmac_f32 v87, 0x3f3504f3, v39
	v_fma_f32 v50, v50, 2.0, -v82
	v_fma_f32 v37, v59, 2.0, -v63
	s_delay_alu instid0(VALU_DEP_4) | instskip(NEXT) | instid1(VALU_DEP_4)
	v_dual_fmac_f32 v66, 0xbf3504f3, v43 :: v_dual_fmac_f32 v89, 0xbf3504f3, v40
	v_fma_f32 v52, v52, 2.0, -v87
	v_fma_f32 v53, v53, 2.0, -v80
	;; [unrolled: 1-line block ×7, first 2 shown]
	v_sub_f32_e32 v41, v44, v37
	v_fma_f32 v40, v51, 2.0, -v89
	v_fmamk_f32 v59, v52, 0xbec3ef15, v50
	v_fma_f32 v38, v57, 2.0, -v42
	v_fmamk_f32 v57, v55, 0xbf3504f3, v46
	;; [unrolled: 2-line block ×3, first 2 shown]
	v_fmamk_f32 v58, v56, 0xbf3504f3, v54
	v_fmamk_f32 v60, v40, 0xbec3ef15, v86
	;; [unrolled: 1-line block ×3, first 2 shown]
	v_fmac_f32_e32 v59, 0x3f6c835e, v40
	v_fmac_f32_e32 v44, 0xbec3ef15, v49
	v_dual_fmac_f32 v58, 0xbf3504f3, v55 :: v_dual_add_f32 v49, v64, v61
	v_fmac_f32_e32 v60, 0xbf6c835e, v52
	v_fmac_f32_e32 v43, 0x3ec3ef15, v47
	v_fma_f32 v55, v50, 2.0, -v59
	v_dual_sub_f32 v50, v62, v63 :: v_dual_fmac_f32 v57, 0x3f3504f3, v56
	v_fma_f32 v40, v45, 2.0, -v44
	s_delay_alu instid0(VALU_DEP_4) | instskip(SKIP_1) | instid1(VALU_DEP_4)
	v_fma_f32 v39, v53, 2.0, -v43
	v_dual_fmamk_f32 v51, v65, 0x3ec3ef15, v80 :: v_dual_fmamk_f32 v52, v66, 0x3ec3ef15, v81
	v_fma_f32 v53, v46, 2.0, -v57
	v_fma_f32 v45, v61, 2.0, -v49
	;; [unrolled: 1-line block ×3, first 2 shown]
	v_fmamk_f32 v61, v48, 0x3f3504f3, v83
	v_fmamk_f32 v62, v88, 0x3f3504f3, v84
	v_dual_fmamk_f32 v63, v87, 0x3f6c835e, v82 :: v_dual_fmamk_f32 v64, v89, 0x3f6c835e, v85
	v_fmac_f32_e32 v51, 0x3f6c835e, v66
	v_fmac_f32_e32 v52, 0xbf6c835e, v65
	;; [unrolled: 1-line block ×6, first 2 shown]
	v_fma_f32 v54, v54, 2.0, -v58
	v_fma_f32 v56, v86, 2.0, -v60
	;; [unrolled: 1-line block ×8, first 2 shown]
	global_wb scope:SCOPE_SE
	s_barrier_signal -1
	s_barrier_wait -1
	global_inv scope:SCOPE_SE
	s_and_saveexec_b32 s4, vcc_lo
	s_cbranch_execz .LBB0_17
; %bb.16:
	ds_store_b128 v78, v[37:40]
	ds_store_b128 v78, v[53:56] offset:16
	ds_store_b128 v78, v[45:48] offset:32
	;; [unrolled: 1-line block ×7, first 2 shown]
.LBB0_17:
	s_wait_alu 0xfffe
	s_or_b32 exec_lo, exec_lo, s4
	global_wb scope:SCOPE_SE
	s_wait_dscnt 0x0
	s_barrier_signal -1
	s_barrier_wait -1
	global_inv scope:SCOPE_SE
	s_and_saveexec_b32 s4, vcc_lo
	s_cbranch_execz .LBB0_19
; %bb.18:
	v_add_nc_u32_e32 v41, 0x400, v74
	v_add_nc_u32_e32 v42, 0x800, v74
	v_add_nc_u32_e32 v43, 0x1000, v74
	ds_load_2addr_b64 v[37:40], v74 offset1:96
	v_add_nc_u32_e32 v49, 0x1c00, v74
	ds_load_2addr_b64 v[53:56], v41 offset0:64 offset1:160
	ds_load_2addr_b64 v[45:48], v42 offset0:128 offset1:224
	v_add_nc_u32_e32 v41, 0x1800, v74
	v_add_nc_u32_e32 v50, 0x2000, v74
	;; [unrolled: 1-line block ×3, first 2 shown]
	ds_load_2addr_b64 v[65:68], v43 offset0:64 offset1:160
	ds_load_2addr_b64 v[41:44], v41 offset1:96
	ds_load_2addr_b64 v[57:60], v49 offset0:64 offset1:160
	ds_load_2addr_b64 v[49:52], v50 offset0:128 offset1:224
	;; [unrolled: 1-line block ×3, first 2 shown]
.LBB0_19:
	s_wait_alu 0xfffe
	s_or_b32 exec_lo, exec_lo, s4
	global_wb scope:SCOPE_SE
	s_wait_dscnt 0x0
	s_barrier_signal -1
	s_barrier_wait -1
	global_inv scope:SCOPE_SE
	s_and_saveexec_b32 s4, vcc_lo
	s_cbranch_execz .LBB0_21
; %bb.20:
	v_mul_f32_e32 v83, v4, v41
	v_mul_f32_e32 v80, v24, v57
	v_mul_f32_e32 v82, v28, v62
	v_mul_f32_e32 v81, v16, v66
	v_mul_f32_e32 v85, v20, v50
	v_mul_f32_e32 v84, v8, v46
	v_fma_f32 v83, v3, v42, -v83
	v_mul_f32_e32 v78, v12, v53
	v_mul_f32_e32 v12, v12, v54
	v_fmac_f32_e32 v82, v27, v61
	v_fmac_f32_e32 v81, v15, v65
	;; [unrolled: 1-line block ×3, first 2 shown]
	v_dual_fmac_f32 v84, v7, v45 :: v_dual_sub_f32 v83, v38, v83
	v_fma_f32 v78, v11, v54, -v78
	v_mul_f32_e32 v16, v16, v65
	v_mul_f32_e32 v28, v28, v61
	v_mul_f32_e32 v24, v24, v58
	v_dual_fmac_f32 v12, v11, v53 :: v_dual_mul_f32 v11, v6, v55
	v_fma_f32 v80, v23, v58, -v80
	v_dual_sub_f32 v82, v81, v82 :: v_dual_sub_f32 v85, v84, v85
	s_delay_alu instid0(VALU_DEP_4) | instskip(SKIP_1) | instid1(VALU_DEP_4)
	v_dual_mul_f32 v53, v10, v39 :: v_dual_fmac_f32 v24, v23, v57
	v_mul_f32_e32 v61, v26, v52
	v_sub_f32_e32 v80, v78, v80
	v_mul_f32_e32 v23, v18, v59
	v_fma_f32 v15, v15, v66, -v16
	v_fma_f32 v16, v27, v62, -v28
	v_mul_f32_e32 v57, v22, v43
	v_mul_f32_e32 v58, v14, v48
	;; [unrolled: 1-line block ×3, first 2 shown]
	v_dual_sub_f32 v86, v80, v82 :: v_dual_sub_f32 v87, v83, v85
	v_mul_f32_e32 v27, v2, v68
	v_dual_sub_f32 v16, v15, v16 :: v_dual_fmac_f32 v61, v25, v51
	v_fma_f32 v11, v5, v56, -v11
	v_fma_f32 v53, v9, v40, -v53
	v_fma_f32 v57, v21, v44, -v57
	v_sub_f32_e32 v24, v12, v24
	v_fmac_f32_e32 v58, v13, v47
	v_dual_fmac_f32 v6, v5, v55 :: v_dual_mul_f32 v5, v18, v60
	v_mul_f32_e32 v28, v71, v64
	v_mul_f32_e32 v14, v14, v47
	;; [unrolled: 1-line block ×5, first 2 shown]
	v_fma_f32 v23, v17, v60, -v23
	v_fmac_f32_e32 v27, v1, v67
	v_sub_f32_e32 v57, v53, v57
	v_sub_f32_e32 v61, v58, v61
	v_fmac_f32_e32 v28, v70, v63
	v_fma_f32 v13, v13, v48, -v14
	v_fma_f32 v14, v25, v52, -v18
	v_fmac_f32_e32 v10, v9, v39
	v_fma_f32 v26, v38, 2.0, -v83
	v_fma_f32 v38, v12, 2.0, -v24
	v_fmac_f32_e32 v22, v21, v43
	v_dual_fmamk_f32 v54, v86, 0x3f3504f3, v87 :: v_dual_sub_f32 v23, v11, v23
	v_dual_add_f32 v62, v16, v24 :: v_dual_fmac_f32 v5, v17, v59
	v_dual_sub_f32 v65, v57, v61 :: v_dual_sub_f32 v28, v27, v28
	v_sub_f32_e32 v14, v13, v14
	v_dual_sub_f32 v18, v10, v22 :: v_dual_mul_f32 v63, v71, v63
	v_fma_f32 v39, v53, 2.0, -v57
	v_fma_f32 v40, v11, 2.0, -v23
	;; [unrolled: 1-line block ×3, first 2 shown]
	s_delay_alu instid0(VALU_DEP_4) | instskip(SKIP_1) | instid1(VALU_DEP_2)
	v_dual_add_f32 v21, v14, v18 :: v_dual_sub_f32 v56, v23, v28
	v_sub_f32_e32 v5, v6, v5
	v_dual_fmamk_f32 v9, v56, 0x3f3504f3, v65 :: v_dual_mul_f32 v2, v2, v67
	s_delay_alu instid0(VALU_DEP_2) | instskip(SKIP_2) | instid1(VALU_DEP_4)
	v_fma_f32 v12, v6, 2.0, -v5
	v_fma_f32 v6, v27, 2.0, -v28
	;; [unrolled: 1-line block ×3, first 2 shown]
	v_fma_f32 v1, v1, v68, -v2
	v_fma_f32 v2, v70, v64, -v63
	s_delay_alu instid0(VALU_DEP_1) | instskip(SKIP_1) | instid1(VALU_DEP_2)
	v_dual_sub_f32 v17, v1, v2 :: v_dual_mul_f32 v2, v8, v45
	v_mul_f32_e32 v8, v20, v49
	v_add_f32_e32 v20, v17, v5
	s_delay_alu instid0(VALU_DEP_3) | instskip(NEXT) | instid1(VALU_DEP_3)
	v_fma_f32 v7, v7, v46, -v2
	v_fma_f32 v2, v19, v50, -v8
	s_delay_alu instid0(VALU_DEP_3) | instskip(NEXT) | instid1(VALU_DEP_1)
	v_dual_fmac_f32 v9, 0xbf3504f3, v20 :: v_dual_mul_f32 v4, v4, v42
	v_fmac_f32_e32 v4, v3, v41
	s_delay_alu instid0(VALU_DEP_1) | instskip(SKIP_1) | instid1(VALU_DEP_2)
	v_dual_sub_f32 v3, v7, v2 :: v_dual_sub_f32 v8, v37, v4
	v_fma_f32 v4, v81, 2.0, -v82
	v_add_f32_e32 v22, v3, v8
	v_fma_f32 v3, v7, 2.0, -v3
	s_delay_alu instid0(VALU_DEP_3) | instskip(SKIP_1) | instid1(VALU_DEP_4)
	v_sub_f32_e32 v27, v38, v4
	v_fma_f32 v4, v58, 2.0, -v61
	v_fmamk_f32 v25, v62, 0x3f3504f3, v22
	v_fma_f32 v7, v13, 2.0, -v14
	v_dual_sub_f32 v13, v26, v3 :: v_dual_sub_f32 v14, v12, v6
	v_fma_f32 v3, v1, 2.0, -v17
	s_delay_alu instid0(VALU_DEP_3) | instskip(NEXT) | instid1(VALU_DEP_3)
	v_dual_fmac_f32 v25, 0x3f3504f3, v86 :: v_dual_sub_f32 v28, v39, v7
	v_sub_f32_e32 v17, v13, v27
	v_fma_f32 v7, v24, 2.0, -v62
	v_fma_f32 v24, v57, 2.0, -v65
	;; [unrolled: 1-line block ×3, first 2 shown]
	v_sub_f32_e32 v41, v28, v14
	v_fma_f32 v5, v5, 2.0, -v20
	v_fmamk_f32 v19, v20, 0x3f3504f3, v21
	s_delay_alu instid0(VALU_DEP_2) | instskip(NEXT) | instid1(VALU_DEP_2)
	v_dual_fmamk_f32 v48, v23, 0xbf3504f3, v24 :: v_dual_fmamk_f32 v49, v5, 0xbf3504f3, v45
	v_fmac_f32_e32 v19, 0x3f3504f3, v56
	v_fma_f32 v10, v10, 2.0, -v18
	s_delay_alu instid0(VALU_DEP_3)
	v_fmac_f32_e32 v49, 0x3f3504f3, v23
	v_fma_f32 v23, v26, 2.0, -v13
	v_fmac_f32_e32 v48, 0xbf3504f3, v5
	v_sub_f32_e32 v42, v40, v3
	v_fma_f32 v3, v15, 2.0, -v16
	v_fmac_f32_e32 v54, 0xbf3504f3, v62
	v_fma_f32 v16, v37, 2.0, -v8
	v_fma_f32 v37, v83, 2.0, -v87
	v_fmamk_f32 v1, v19, 0x3f6c835e, v25
	v_sub_f32_e32 v15, v11, v3
	v_fma_f32 v3, v80, 2.0, -v86
	v_sub_f32_e32 v43, v10, v4
	v_fma_f32 v26, v87, 2.0, -v54
	v_fmac_f32_e32 v1, 0x3ec3ef15, v9
	v_fma_f32 v11, v11, 2.0, -v15
	v_fmamk_f32 v47, v3, 0xbf3504f3, v37
	v_fma_f32 v53, v10, 2.0, -v43
	v_fma_f32 v10, v12, 2.0, -v14
	s_delay_alu instid0(VALU_DEP_4) | instskip(NEXT) | instid1(VALU_DEP_4)
	v_sub_f32_e32 v55, v23, v11
	v_fmac_f32_e32 v47, 0xbf3504f3, v7
	v_fma_f32 v46, v8, 2.0, -v22
	v_fma_f32 v8, v84, 2.0, -v85
	v_fmamk_f32 v2, v9, 0x3f6c835e, v54
	v_fma_f32 v9, v65, 2.0, -v9
	v_fma_f32 v37, v37, 2.0, -v47
	s_delay_alu instid0(VALU_DEP_4) | instskip(NEXT) | instid1(VALU_DEP_4)
	v_dual_fmamk_f32 v50, v7, 0xbf3504f3, v46 :: v_dual_sub_f32 v51, v16, v8
	v_fmac_f32_e32 v2, 0xbec3ef15, v19
	v_fma_f32 v19, v21, 2.0, -v19
	v_fma_f32 v21, v22, 2.0, -v25
	s_delay_alu instid0(VALU_DEP_4)
	v_fmac_f32_e32 v50, 0x3f3504f3, v3
	v_add_f32_e32 v52, v15, v51
	v_fma_f32 v4, v54, 2.0, -v2
	v_fma_f32 v54, v16, 2.0, -v51
	;; [unrolled: 1-line block ×3, first 2 shown]
	v_fmamk_f32 v7, v49, 0x3ec3ef15, v50
	v_fma_f32 v27, v39, 2.0, -v28
	v_fmamk_f32 v16, v9, 0xbec3ef15, v26
	v_fma_f32 v28, v28, 2.0, -v41
	v_fma_f32 v39, v24, 2.0, -v48
	v_dual_fmac_f32 v7, 0x3f6c835e, v48 :: v_dual_add_f32 v44, v42, v43
	v_fmamk_f32 v6, v41, 0x3f3504f3, v17
	v_fmac_f32_e32 v16, 0xbf6c835e, v19
	v_fma_f32 v18, v40, 2.0, -v42
	v_fma_f32 v40, v45, 2.0, -v49
	v_dual_fmamk_f32 v5, v44, 0x3f3504f3, v52 :: v_dual_sub_f32 v56, v53, v10
	v_fma_f32 v3, v25, 2.0, -v1
	s_delay_alu instid0(VALU_DEP_4) | instskip(SKIP_1) | instid1(VALU_DEP_4)
	v_sub_f32_e32 v38, v27, v18
	v_fma_f32 v22, v26, 2.0, -v16
	v_fmac_f32_e32 v5, 0x3f3504f3, v41
	v_sub_f32_e32 v41, v54, v15
	v_fmamk_f32 v15, v19, 0xbec3ef15, v21
	v_fma_f32 v19, v43, 2.0, -v44
	v_fmamk_f32 v26, v39, 0xbf6c835e, v37
	s_delay_alu instid0(VALU_DEP_4) | instskip(NEXT) | instid1(VALU_DEP_4)
	v_fma_f32 v43, v54, 2.0, -v41
	v_fmac_f32_e32 v15, 0x3f6c835e, v9
	v_fma_f32 v9, v51, 2.0, -v52
	v_fmac_f32_e32 v6, 0xbf3504f3, v44
	v_fmac_f32_e32 v26, 0xbec3ef15, v40
	s_delay_alu instid0(VALU_DEP_4) | instskip(NEXT) | instid1(VALU_DEP_3)
	v_fma_f32 v21, v21, 2.0, -v15
	v_fma_f32 v10, v17, 2.0, -v6
	;; [unrolled: 1-line block ×3, first 2 shown]
	s_delay_alu instid0(VALU_DEP_1) | instskip(NEXT) | instid1(VALU_DEP_1)
	v_dual_add_f32 v13, v41, v38 :: v_dual_fmamk_f32 v18, v28, 0xbf3504f3, v17
	v_fmac_f32_e32 v18, 0xbf3504f3, v19
	s_delay_alu instid0(VALU_DEP_1) | instskip(SKIP_4) | instid1(VALU_DEP_4)
	v_fma_f32 v24, v17, 2.0, -v18
	v_fmamk_f32 v17, v19, 0xbf3504f3, v9
	v_fma_f32 v19, v23, 2.0, -v55
	v_fma_f32 v23, v27, 2.0, -v38
	;; [unrolled: 1-line block ×3, first 2 shown]
	v_fmac_f32_e32 v17, 0x3f3504f3, v28
	v_fma_f32 v42, v46, 2.0, -v50
	s_delay_alu instid0(VALU_DEP_4) | instskip(SKIP_2) | instid1(VALU_DEP_4)
	v_sub_f32_e32 v28, v19, v23
	v_and_or_b32 v23, 0x700, v79, v77
	v_fma_f32 v11, v50, 2.0, -v7
	v_fmamk_f32 v25, v40, 0xbf6c835e, v42
	v_fma_f32 v27, v53, 2.0, -v56
	v_fmamk_f32 v8, v48, 0x3ec3ef15, v47
	v_sub_f32_e32 v14, v55, v56
	v_fma_f32 v40, v19, 2.0, -v28
	v_fmac_f32_e32 v25, 0x3ec3ef15, v39
	s_delay_alu instid0(VALU_DEP_4) | instskip(NEXT) | instid1(VALU_DEP_4)
	v_dual_sub_f32 v27, v43, v27 :: v_dual_fmac_f32 v8, 0xbf6c835e, v49
	v_fma_f32 v20, v55, 2.0, -v14
	v_fma_f32 v19, v41, 2.0, -v13
	s_delay_alu instid0(VALU_DEP_4) | instskip(NEXT) | instid1(VALU_DEP_4)
	v_fma_f32 v37, v42, 2.0, -v25
	v_fma_f32 v39, v43, 2.0, -v27
	v_lshlrev_b32_e32 v42, 3, v23
	v_fma_f32 v23, v9, 2.0, -v17
	v_fma_f32 v12, v47, 2.0, -v8
	v_fma_f32 v9, v52, 2.0, -v5
	ds_store_2addr_b64 v42, v[39:40], v[37:38] offset1:16
	ds_store_2addr_b64 v42, v[23:24], v[21:22] offset0:32 offset1:48
	ds_store_2addr_b64 v42, v[19:20], v[11:12] offset0:64 offset1:80
	;; [unrolled: 1-line block ×7, first 2 shown]
.LBB0_21:
	s_wait_alu 0xfffe
	s_or_b32 exec_lo, exec_lo, s4
	global_wb scope:SCOPE_SE
	s_wait_dscnt 0x0
	s_barrier_signal -1
	s_barrier_wait -1
	global_inv scope:SCOPE_SE
	ds_load_2addr_stride64_b64 v[1:4], v74 offset1:4
	ds_load_2addr_stride64_b64 v[5:8], v74 offset0:8 offset1:12
	ds_load_2addr_stride64_b64 v[9:12], v74 offset0:16 offset1:20
	s_wait_dscnt 0x1
	v_dual_mul_f32 v14, v34, v3 :: v_dual_mul_f32 v15, v36, v6
	s_wait_dscnt 0x0
	v_dual_mul_f32 v18, v30, v7 :: v_dual_mul_f32 v19, v32, v10
	v_dual_mul_f32 v13, v34, v4 :: v_dual_mul_f32 v16, v36, v5
	;; [unrolled: 1-line block ×3, first 2 shown]
	v_dual_mul_f32 v22, v73, v11 :: v_dual_fmac_f32 v15, v35, v5
	s_delay_alu instid0(VALU_DEP_4) | instskip(NEXT) | instid1(VALU_DEP_4)
	v_fmac_f32_e32 v19, v31, v9
	v_fmac_f32_e32 v13, v33, v3
	v_fma_f32 v3, v33, v4, -v14
	v_fma_f32 v4, v35, v6, -v16
	;; [unrolled: 1-line block ×4, first 2 shown]
	v_mul_f32_e32 v21, v73, v12
	v_add_f32_e32 v8, v1, v15
	s_delay_alu instid0(VALU_DEP_3) | instskip(NEXT) | instid1(VALU_DEP_1)
	v_dual_add_f32 v9, v15, v19 :: v_dual_sub_f32 v10, v4, v6
	v_fma_f32 v14, -0.5, v9, v1
	s_delay_alu instid0(VALU_DEP_4) | instskip(SKIP_4) | instid1(VALU_DEP_4)
	v_fmac_f32_e32 v21, v72, v11
	v_dual_add_f32 v11, v4, v6 :: v_dual_add_f32 v4, v2, v4
	v_fmac_f32_e32 v17, v29, v7
	v_fma_f32 v7, v72, v12, -v22
	v_sub_f32_e32 v12, v15, v19
	v_fma_f32 v15, -0.5, v11, v2
	v_add_f32_e32 v16, v4, v6
	v_dual_add_f32 v8, v8, v19 :: v_dual_fmamk_f32 v9, v10, 0xbf5db3d7, v14
	v_dual_add_f32 v1, v5, v7 :: v_dual_add_f32 v4, v3, v5
	v_fmac_f32_e32 v14, 0x3f5db3d7, v10
	v_add_f32_e32 v2, v17, v21
	v_fmamk_f32 v10, v12, 0x3f5db3d7, v15
	v_fmac_f32_e32 v15, 0xbf5db3d7, v12
	v_fmac_f32_e32 v3, -0.5, v1
	s_delay_alu instid0(VALU_DEP_4) | instskip(SKIP_2) | instid1(VALU_DEP_3)
	v_dual_add_f32 v6, v13, v17 :: v_dual_fmac_f32 v13, -0.5, v2
	v_sub_f32_e32 v2, v5, v7
	v_dual_sub_f32 v1, v17, v21 :: v_dual_add_f32 v18, v4, v7
	v_add_f32_e32 v11, v6, v21
	s_delay_alu instid0(VALU_DEP_3) | instskip(NEXT) | instid1(VALU_DEP_3)
	v_fmamk_f32 v6, v2, 0xbf5db3d7, v13
	v_fmamk_f32 v5, v1, 0x3f5db3d7, v3
	s_delay_alu instid0(VALU_DEP_1) | instskip(SKIP_1) | instid1(VALU_DEP_2)
	v_mul_f32_e32 v12, 0xbf5db3d7, v5
	v_fmac_f32_e32 v3, 0xbf5db3d7, v1
	v_dual_mul_f32 v19, 0.5, v5 :: v_dual_fmac_f32 v12, 0.5, v6
	s_delay_alu instid0(VALU_DEP_2) | instskip(NEXT) | instid1(VALU_DEP_2)
	v_mul_f32_e32 v17, 0xbf5db3d7, v3
	v_dual_mul_f32 v20, -0.5, v3 :: v_dual_fmac_f32 v19, 0x3f5db3d7, v6
	v_fmac_f32_e32 v13, 0x3f5db3d7, v2
	s_delay_alu instid0(VALU_DEP_4) | instskip(SKIP_1) | instid1(VALU_DEP_4)
	v_dual_add_f32 v3, v9, v12 :: v_dual_add_f32 v2, v16, v18
	v_sub_f32_e32 v7, v8, v11
	v_add_f32_e32 v4, v10, v19
	s_delay_alu instid0(VALU_DEP_4) | instskip(SKIP_2) | instid1(VALU_DEP_2)
	v_dual_add_f32 v1, v8, v11 :: v_dual_fmac_f32 v20, 0x3f5db3d7, v13
	v_dual_fmac_f32 v17, -0.5, v13 :: v_dual_sub_f32 v8, v16, v18
	v_sub_f32_e32 v9, v9, v12
	v_dual_add_f32 v6, v15, v20 :: v_dual_add_f32 v5, v14, v17
	v_dual_sub_f32 v11, v14, v17 :: v_dual_sub_f32 v12, v15, v20
	v_sub_f32_e32 v10, v10, v19
	ds_store_2addr_stride64_b64 v74, v[1:2], v[3:4] offset1:4
	ds_store_2addr_stride64_b64 v74, v[5:6], v[7:8] offset0:8 offset1:12
	ds_store_2addr_stride64_b64 v74, v[9:10], v[11:12] offset0:16 offset1:20
	global_wb scope:SCOPE_SE
	s_wait_dscnt 0x0
	s_barrier_signal -1
	s_barrier_wait -1
	global_inv scope:SCOPE_SE
	s_and_b32 exec_lo, exec_lo, vcc_lo
	s_cbranch_execz .LBB0_23
; %bb.22:
	s_clause 0xd
	global_load_b64 v[28:29], v74, s[8:9]
	global_load_b64 v[30:31], v74, s[8:9] offset:768
	global_load_b64 v[32:33], v74, s[8:9] offset:1536
	;; [unrolled: 1-line block ×13, first 2 shown]
	v_mad_co_u64_u32 v[4:5], null, s2, v69, 0
	v_mad_co_u64_u32 v[6:7], null, s0, v0, 0
	s_mul_i32 s6, s1, 0x600
	s_mov_b32 s4, 0x55555555
	s_mov_b32 s5, 0x3f455555
	v_mad_co_u64_u32 v[56:57], null, s0, v76, 0
	s_delay_alu instid0(VALU_DEP_2) | instskip(SKIP_3) | instid1(VALU_DEP_4)
	v_dual_mov_b32 v1, v5 :: v_dual_mov_b32 v2, v7
	v_mad_co_u64_u32 v[66:67], null, s0, v75, 0
	v_add_nc_u32_e32 v10, 0x800, v74
	v_add_nc_u32_e32 v12, 0x1000, v74
	v_mad_co_u64_u32 v[7:8], null, s3, v69, v[1:2]
	v_mad_co_u64_u32 v[8:9], null, s1, v0, v[2:3]
	ds_load_2addr_b64 v[0:3], v74 offset1:96
	v_add_nc_u32_e32 v9, 0x400, v74
	s_mul_u64 s[2:3], s[0:1], 0x300
	v_dual_mov_b32 v5, v7 :: v_dual_add_nc_u32 v16, 0x1800, v74
	v_dual_mov_b32 v7, v8 :: v_dual_add_nc_u32 v20, 0x1c00, v74
	ds_load_2addr_b64 v[12:15], v12 offset0:64 offset1:160
	v_add_nc_u32_e32 v24, 0x2000, v74
	v_lshlrev_b64_e32 v[4:5], 3, v[4:5]
	v_lshlrev_b64_e32 v[6:7], 3, v[6:7]
	s_delay_alu instid0(VALU_DEP_2) | instskip(NEXT) | instid1(VALU_DEP_3)
	v_add_co_u32 v83, vcc_lo, s12, v4
	v_add_co_ci_u32_e32 v84, vcc_lo, s13, v5, vcc_lo
	s_delay_alu instid0(VALU_DEP_2) | instskip(SKIP_1) | instid1(VALU_DEP_2)
	v_add_co_u32 v58, vcc_lo, v83, v6
	s_wait_alu 0xfffd
	v_add_co_ci_u32_e32 v59, vcc_lo, v84, v7, vcc_lo
	s_wait_alu 0xfffe
	s_delay_alu instid0(VALU_DEP_2) | instskip(SKIP_1) | instid1(VALU_DEP_2)
	v_add_co_u32 v60, vcc_lo, v58, s2
	s_wait_alu 0xfffd
	v_add_co_ci_u32_e32 v61, vcc_lo, s3, v59, vcc_lo
	s_delay_alu instid0(VALU_DEP_2) | instskip(SKIP_1) | instid1(VALU_DEP_2)
	v_add_co_u32 v62, vcc_lo, v60, s2
	s_wait_alu 0xfffd
	v_add_co_ci_u32_e32 v63, vcc_lo, s3, v61, vcc_lo
	s_delay_alu instid0(VALU_DEP_2) | instskip(SKIP_1) | instid1(VALU_DEP_2)
	v_add_co_u32 v64, vcc_lo, v62, s2
	s_wait_alu 0xfffd
	v_add_co_ci_u32_e32 v65, vcc_lo, s3, v63, vcc_lo
	s_delay_alu instid0(VALU_DEP_1)
	v_mad_co_u64_u32 v[68:69], null, 0x600, s0, v[64:65]
	s_wait_loadcnt_dscnt 0xd01
	v_mul_f32_e32 v70, v1, v29
	ds_load_2addr_b64 v[4:7], v9 offset0:64 offset1:160
	ds_load_2addr_b64 v[8:11], v10 offset0:128 offset1:224
	v_mul_f32_e32 v29, v0, v29
	s_wait_loadcnt 0xc
	v_mul_f32_e32 v71, v3, v31
	v_mul_f32_e32 v31, v2, v31
	ds_load_2addr_b64 v[16:19], v16 offset1:96
	ds_load_2addr_b64 v[20:23], v20 offset0:64 offset1:160
	ds_load_2addr_b64 v[24:27], v24 offset0:128 offset1:224
	v_add_nc_u32_e32 v69, s6, v69
	s_wait_loadcnt_dscnt 0x705
	v_mul_f32_e32 v79, v13, v41
	v_dual_fmac_f32 v71, v2, v30 :: v_dual_fmac_f32 v70, v0, v28
	v_fma_f32 v28, v28, v1, -v29
	v_fma_f32 v29, v30, v3, -v31
	s_wait_loadcnt 0x6
	v_mul_f32_e32 v80, v15, v43
	v_mul_f32_e32 v43, v14, v43
	v_cvt_f64_f32_e32 v[0:1], v70
	v_cvt_f64_f32_e32 v[2:3], v28
	v_add_co_u32 v70, vcc_lo, v68, s2
	v_fmac_f32_e32 v80, v14, v42
	s_wait_dscnt 0x4
	v_dual_mul_f32 v72, v5, v33 :: v_dual_mul_f32 v73, v7, v35
	v_mul_f32_e32 v33, v4, v33
	v_mul_f32_e32 v35, v6, v35
	s_wait_loadcnt_dscnt 0x402
	v_dual_mul_f32 v77, v9, v37 :: v_dual_mul_f32 v82, v19, v47
	s_wait_loadcnt_dscnt 0x201
	v_dual_mul_f32 v37, v8, v37 :: v_dual_mul_f32 v86, v23, v51
	v_mul_f32_e32 v78, v11, v39
	v_dual_mul_f32 v39, v10, v39 :: v_dual_fmac_f32 v72, v4, v32
	v_mul_f32_e32 v41, v12, v41
	v_fma_f32 v30, v32, v5, -v33
	s_delay_alu instid0(VALU_DEP_4)
	v_dual_fmac_f32 v78, v10, v38 :: v_dual_mul_f32 v81, v17, v45
	v_dual_mul_f32 v45, v16, v45 :: v_dual_fmac_f32 v82, v18, v46
	v_fmac_f32_e32 v73, v6, v34
	v_fma_f32 v31, v34, v7, -v35
	v_mul_f32_e32 v47, v18, v47
	v_fmac_f32_e32 v77, v8, v36
	v_fma_f32 v32, v36, v9, -v37
	v_dual_mul_f32 v85, v21, v49 :: v_dual_fmac_f32 v86, v22, v50
	v_mul_f32_e32 v51, v22, v51
	s_wait_loadcnt_dscnt 0x0
	v_dual_mul_f32 v88, v27, v55 :: v_dual_mul_f32 v49, v20, v49
	v_fma_f32 v33, v38, v11, -v39
	v_mul_f32_e32 v87, v25, v53
	v_mul_f32_e32 v53, v24, v53
	;; [unrolled: 1-line block ×3, first 2 shown]
	v_fmac_f32_e32 v79, v12, v40
	v_fma_f32 v34, v40, v13, -v41
	v_cvt_f64_f32_e32 v[4:5], v71
	v_cvt_f64_f32_e32 v[6:7], v29
	v_fma_f32 v35, v42, v15, -v43
	v_cvt_f64_f32_e32 v[8:9], v72
	v_cvt_f64_f32_e32 v[10:11], v30
	v_fmac_f32_e32 v81, v16, v44
	v_fma_f32 v36, v44, v17, -v45
	v_cvt_f64_f32_e32 v[12:13], v73
	v_cvt_f64_f32_e32 v[14:15], v31
	v_fma_f32 v38, v46, v19, -v47
	v_cvt_f64_f32_e32 v[16:17], v77
	v_cvt_f64_f32_e32 v[18:19], v32
	v_fmac_f32_e32 v85, v20, v48
	v_fma_f32 v46, v50, v23, -v51
	v_fmac_f32_e32 v88, v26, v54
	v_fma_f32 v42, v48, v21, -v49
	v_cvt_f64_f32_e32 v[20:21], v78
	v_cvt_f64_f32_e32 v[22:23], v33
	v_fmac_f32_e32 v87, v24, v52
	v_fma_f32 v50, v52, v25, -v53
	v_fma_f32 v54, v54, v27, -v55
	v_cvt_f64_f32_e32 v[24:25], v79
	v_cvt_f64_f32_e32 v[26:27], v34
	;; [unrolled: 1-line block ×16, first 2 shown]
	v_mul_f64_e32 v[0:1], s[4:5], v[0:1]
	v_mul_f64_e32 v[2:3], s[4:5], v[2:3]
	;; [unrolled: 1-line block ×6, first 2 shown]
	s_wait_alu 0xfffd
	v_add_co_ci_u32_e32 v71, vcc_lo, s3, v69, vcc_lo
	v_mul_f64_e32 v[12:13], s[4:5], v[12:13]
	v_mul_f64_e32 v[14:15], s[4:5], v[14:15]
	v_mad_co_u64_u32 v[72:73], null, s1, v76, v[57:58]
	v_mul_f64_e32 v[16:17], s[4:5], v[16:17]
	v_mul_f64_e32 v[18:19], s[4:5], v[18:19]
	v_add_co_u32 v76, vcc_lo, v70, s2
	s_wait_alu 0xfffd
	v_add_co_ci_u32_e32 v77, vcc_lo, s3, v71, vcc_lo
	v_mul_f64_e32 v[20:21], s[4:5], v[20:21]
	v_mul_f64_e32 v[22:23], s[4:5], v[22:23]
	v_add_co_u32 v78, vcc_lo, v76, s2
	v_mul_f64_e32 v[24:25], s[4:5], v[24:25]
	v_mul_f64_e32 v[26:27], s[4:5], v[26:27]
	;; [unrolled: 1-line block ×16, first 2 shown]
	v_cvt_f32_f64_e32 v0, v[0:1]
	v_cvt_f32_f64_e32 v1, v[2:3]
	;; [unrolled: 1-line block ×6, first 2 shown]
	s_wait_alu 0xfffd
	v_add_co_ci_u32_e32 v79, vcc_lo, s3, v77, vcc_lo
	v_cvt_f32_f64_e32 v6, v[12:13]
	v_cvt_f32_f64_e32 v7, v[14:15]
	v_mad_co_u64_u32 v[80:81], null, s1, v75, v[67:68]
	v_cvt_f32_f64_e32 v8, v[16:17]
	v_cvt_f32_f64_e32 v9, v[18:19]
	v_add_co_u32 v81, vcc_lo, v78, s2
	s_wait_alu 0xfffd
	v_add_co_ci_u32_e32 v82, vcc_lo, s3, v79, vcc_lo
	v_cvt_f32_f64_e32 v10, v[20:21]
	v_cvt_f32_f64_e32 v11, v[22:23]
	v_mov_b32_e32 v57, v72
	v_mov_b32_e32 v67, v80
	v_cvt_f32_f64_e32 v12, v[24:25]
	v_cvt_f32_f64_e32 v13, v[26:27]
	;; [unrolled: 1-line block ×16, first 2 shown]
	v_add_co_u32 v28, vcc_lo, v81, s2
	s_wait_alu 0xfffd
	v_add_co_ci_u32_e32 v29, vcc_lo, s3, v82, vcc_lo
	v_lshlrev_b64_e32 v[32:33], 3, v[56:57]
	s_delay_alu instid0(VALU_DEP_3) | instskip(SKIP_1) | instid1(VALU_DEP_3)
	v_add_co_u32 v30, vcc_lo, v28, s2
	s_wait_alu 0xfffd
	v_add_co_ci_u32_e32 v31, vcc_lo, s3, v29, vcc_lo
	v_lshlrev_b64_e32 v[34:35], 3, v[66:67]
	s_delay_alu instid0(VALU_DEP_4) | instskip(NEXT) | instid1(VALU_DEP_3)
	v_add_co_u32 v32, vcc_lo, v83, v32
	v_mad_co_u64_u32 v[36:37], null, 0x600, s0, v[30:31]
	s_wait_alu 0xfffd
	v_add_co_ci_u32_e32 v33, vcc_lo, v84, v33, vcc_lo
	s_delay_alu instid0(VALU_DEP_4) | instskip(SKIP_2) | instid1(VALU_DEP_4)
	v_add_co_u32 v34, vcc_lo, v83, v34
	s_wait_alu 0xfffd
	v_add_co_ci_u32_e32 v35, vcc_lo, v84, v35, vcc_lo
	v_add_nc_u32_e32 v37, s6, v37
	s_clause 0x5
	global_store_b64 v[58:59], v[0:1], off
	global_store_b64 v[60:61], v[2:3], off
	;; [unrolled: 1-line block ×14, first 2 shown]
	global_load_b64 v[4:5], v74, s[8:9] offset:10752
	v_add_nc_u32_e32 v0, 0x2800, v74
	ds_load_2addr_b64 v[0:3], v0 offset0:64 offset1:160
	s_wait_loadcnt_dscnt 0x0
	v_mul_f32_e32 v6, v1, v5
	v_mul_f32_e32 v5, v0, v5
	s_delay_alu instid0(VALU_DEP_2) | instskip(NEXT) | instid1(VALU_DEP_2)
	v_fmac_f32_e32 v6, v0, v4
	v_fma_f32 v4, v4, v1, -v5
	s_delay_alu instid0(VALU_DEP_2) | instskip(NEXT) | instid1(VALU_DEP_2)
	v_cvt_f64_f32_e32 v[0:1], v6
	v_cvt_f64_f32_e32 v[4:5], v4
	s_delay_alu instid0(VALU_DEP_2) | instskip(NEXT) | instid1(VALU_DEP_2)
	v_mul_f64_e32 v[0:1], s[4:5], v[0:1]
	v_mul_f64_e32 v[4:5], s[4:5], v[4:5]
	s_delay_alu instid0(VALU_DEP_2) | instskip(NEXT) | instid1(VALU_DEP_2)
	v_cvt_f32_f64_e32 v0, v[0:1]
	v_cvt_f32_f64_e32 v1, v[4:5]
	v_add_co_u32 v4, vcc_lo, v36, s2
	s_wait_alu 0xfffd
	v_add_co_ci_u32_e32 v5, vcc_lo, s3, v37, vcc_lo
	global_store_b64 v[4:5], v[0:1], off
	global_load_b64 v[0:1], v74, s[8:9] offset:11520
	s_wait_loadcnt 0x0
	v_mul_f32_e32 v6, v3, v1
	v_mul_f32_e32 v1, v2, v1
	s_delay_alu instid0(VALU_DEP_2) | instskip(NEXT) | instid1(VALU_DEP_2)
	v_fmac_f32_e32 v6, v2, v0
	v_fma_f32 v2, v0, v3, -v1
	s_delay_alu instid0(VALU_DEP_2) | instskip(NEXT) | instid1(VALU_DEP_2)
	v_cvt_f64_f32_e32 v[0:1], v6
	v_cvt_f64_f32_e32 v[2:3], v2
	s_delay_alu instid0(VALU_DEP_2) | instskip(NEXT) | instid1(VALU_DEP_2)
	v_mul_f64_e32 v[0:1], s[4:5], v[0:1]
	v_mul_f64_e32 v[2:3], s[4:5], v[2:3]
	s_delay_alu instid0(VALU_DEP_2) | instskip(NEXT) | instid1(VALU_DEP_2)
	v_cvt_f32_f64_e32 v0, v[0:1]
	v_cvt_f32_f64_e32 v1, v[2:3]
	v_add_co_u32 v2, vcc_lo, v4, s2
	s_wait_alu 0xfffd
	v_add_co_ci_u32_e32 v3, vcc_lo, s3, v5, vcc_lo
	global_store_b64 v[2:3], v[0:1], off
.LBB0_23:
	s_nop 0
	s_sendmsg sendmsg(MSG_DEALLOC_VGPRS)
	s_endpgm
	.section	.rodata,"a",@progbits
	.p2align	6, 0x0
	.amdhsa_kernel bluestein_single_back_len1536_dim1_sp_op_CI_CI
		.amdhsa_group_segment_fixed_size 12288
		.amdhsa_private_segment_fixed_size 0
		.amdhsa_kernarg_size 104
		.amdhsa_user_sgpr_count 2
		.amdhsa_user_sgpr_dispatch_ptr 0
		.amdhsa_user_sgpr_queue_ptr 0
		.amdhsa_user_sgpr_kernarg_segment_ptr 1
		.amdhsa_user_sgpr_dispatch_id 0
		.amdhsa_user_sgpr_private_segment_size 0
		.amdhsa_wavefront_size32 1
		.amdhsa_uses_dynamic_stack 0
		.amdhsa_enable_private_segment 0
		.amdhsa_system_sgpr_workgroup_id_x 1
		.amdhsa_system_sgpr_workgroup_id_y 0
		.amdhsa_system_sgpr_workgroup_id_z 0
		.amdhsa_system_sgpr_workgroup_info 0
		.amdhsa_system_vgpr_workitem_id 0
		.amdhsa_next_free_vgpr 168
		.amdhsa_next_free_sgpr 14
		.amdhsa_reserve_vcc 1
		.amdhsa_float_round_mode_32 0
		.amdhsa_float_round_mode_16_64 0
		.amdhsa_float_denorm_mode_32 3
		.amdhsa_float_denorm_mode_16_64 3
		.amdhsa_fp16_overflow 0
		.amdhsa_workgroup_processor_mode 1
		.amdhsa_memory_ordered 1
		.amdhsa_forward_progress 0
		.amdhsa_round_robin_scheduling 0
		.amdhsa_exception_fp_ieee_invalid_op 0
		.amdhsa_exception_fp_denorm_src 0
		.amdhsa_exception_fp_ieee_div_zero 0
		.amdhsa_exception_fp_ieee_overflow 0
		.amdhsa_exception_fp_ieee_underflow 0
		.amdhsa_exception_fp_ieee_inexact 0
		.amdhsa_exception_int_div_zero 0
	.end_amdhsa_kernel
	.text
.Lfunc_end0:
	.size	bluestein_single_back_len1536_dim1_sp_op_CI_CI, .Lfunc_end0-bluestein_single_back_len1536_dim1_sp_op_CI_CI
                                        ; -- End function
	.section	.AMDGPU.csdata,"",@progbits
; Kernel info:
; codeLenInByte = 11320
; NumSgprs: 16
; NumVgprs: 168
; ScratchSize: 0
; MemoryBound: 0
; FloatMode: 240
; IeeeMode: 1
; LDSByteSize: 12288 bytes/workgroup (compile time only)
; SGPRBlocks: 1
; VGPRBlocks: 20
; NumSGPRsForWavesPerEU: 16
; NumVGPRsForWavesPerEU: 168
; Occupancy: 9
; WaveLimiterHint : 1
; COMPUTE_PGM_RSRC2:SCRATCH_EN: 0
; COMPUTE_PGM_RSRC2:USER_SGPR: 2
; COMPUTE_PGM_RSRC2:TRAP_HANDLER: 0
; COMPUTE_PGM_RSRC2:TGID_X_EN: 1
; COMPUTE_PGM_RSRC2:TGID_Y_EN: 0
; COMPUTE_PGM_RSRC2:TGID_Z_EN: 0
; COMPUTE_PGM_RSRC2:TIDIG_COMP_CNT: 0
	.text
	.p2alignl 7, 3214868480
	.fill 96, 4, 3214868480
	.type	__hip_cuid_cee6cfb79c4869a,@object ; @__hip_cuid_cee6cfb79c4869a
	.section	.bss,"aw",@nobits
	.globl	__hip_cuid_cee6cfb79c4869a
__hip_cuid_cee6cfb79c4869a:
	.byte	0                               ; 0x0
	.size	__hip_cuid_cee6cfb79c4869a, 1

	.ident	"AMD clang version 19.0.0git (https://github.com/RadeonOpenCompute/llvm-project roc-6.4.0 25133 c7fe45cf4b819c5991fe208aaa96edf142730f1d)"
	.section	".note.GNU-stack","",@progbits
	.addrsig
	.addrsig_sym __hip_cuid_cee6cfb79c4869a
	.amdgpu_metadata
---
amdhsa.kernels:
  - .args:
      - .actual_access:  read_only
        .address_space:  global
        .offset:         0
        .size:           8
        .value_kind:     global_buffer
      - .actual_access:  read_only
        .address_space:  global
        .offset:         8
        .size:           8
        .value_kind:     global_buffer
      - .actual_access:  read_only
        .address_space:  global
        .offset:         16
        .size:           8
        .value_kind:     global_buffer
      - .actual_access:  read_only
        .address_space:  global
        .offset:         24
        .size:           8
        .value_kind:     global_buffer
      - .actual_access:  read_only
        .address_space:  global
        .offset:         32
        .size:           8
        .value_kind:     global_buffer
      - .offset:         40
        .size:           8
        .value_kind:     by_value
      - .address_space:  global
        .offset:         48
        .size:           8
        .value_kind:     global_buffer
      - .address_space:  global
        .offset:         56
        .size:           8
        .value_kind:     global_buffer
      - .address_space:  global
        .offset:         64
        .size:           8
        .value_kind:     global_buffer
      - .address_space:  global
        .offset:         72
        .size:           8
        .value_kind:     global_buffer
      - .offset:         80
        .size:           4
        .value_kind:     by_value
      - .address_space:  global
        .offset:         88
        .size:           8
        .value_kind:     global_buffer
      - .address_space:  global
        .offset:         96
        .size:           8
        .value_kind:     global_buffer
    .group_segment_fixed_size: 12288
    .kernarg_segment_align: 8
    .kernarg_segment_size: 104
    .language:       OpenCL C
    .language_version:
      - 2
      - 0
    .max_flat_workgroup_size: 256
    .name:           bluestein_single_back_len1536_dim1_sp_op_CI_CI
    .private_segment_fixed_size: 0
    .sgpr_count:     16
    .sgpr_spill_count: 0
    .symbol:         bluestein_single_back_len1536_dim1_sp_op_CI_CI.kd
    .uniform_work_group_size: 1
    .uses_dynamic_stack: false
    .vgpr_count:     168
    .vgpr_spill_count: 0
    .wavefront_size: 32
    .workgroup_processor_mode: 1
amdhsa.target:   amdgcn-amd-amdhsa--gfx1201
amdhsa.version:
  - 1
  - 2
...

	.end_amdgpu_metadata
